;; amdgpu-corpus repo=ROCm/rocFFT kind=compiled arch=gfx1100 opt=O3
	.text
	.amdgcn_target "amdgcn-amd-amdhsa--gfx1100"
	.amdhsa_code_object_version 6
	.protected	fft_rtc_back_len4050_factors_10_5_3_3_3_3_wgs_135_tpt_135_halfLds_half_ip_CI_unitstride_sbrr_dirReg ; -- Begin function fft_rtc_back_len4050_factors_10_5_3_3_3_3_wgs_135_tpt_135_halfLds_half_ip_CI_unitstride_sbrr_dirReg
	.globl	fft_rtc_back_len4050_factors_10_5_3_3_3_3_wgs_135_tpt_135_halfLds_half_ip_CI_unitstride_sbrr_dirReg
	.p2align	8
	.type	fft_rtc_back_len4050_factors_10_5_3_3_3_3_wgs_135_tpt_135_halfLds_half_ip_CI_unitstride_sbrr_dirReg,@function
fft_rtc_back_len4050_factors_10_5_3_3_3_3_wgs_135_tpt_135_halfLds_half_ip_CI_unitstride_sbrr_dirReg: ; @fft_rtc_back_len4050_factors_10_5_3_3_3_3_wgs_135_tpt_135_halfLds_half_ip_CI_unitstride_sbrr_dirReg
; %bb.0:
	s_clause 0x2
	s_load_b128 s[4:7], s[0:1], 0x0
	s_load_b64 s[8:9], s[0:1], 0x50
	s_load_b64 s[10:11], s[0:1], 0x18
	v_mul_u32_u24_e32 v1, 0x1e6, v0
	v_mov_b32_e32 v3, 0
	v_mov_b32_e32 v4, 0
	s_delay_alu instid0(VALU_DEP_3) | instskip(SKIP_1) | instid1(VALU_DEP_1)
	v_lshrrev_b32_e32 v2, 16, v1
	v_mov_b32_e32 v1, 0
	v_dual_mov_b32 v6, v1 :: v_dual_add_nc_u32 v5, s15, v2
	s_waitcnt lgkmcnt(0)
	v_cmp_lt_u64_e64 s2, s[6:7], 2
	s_delay_alu instid0(VALU_DEP_1)
	s_and_b32 vcc_lo, exec_lo, s2
	s_cbranch_vccnz .LBB0_8
; %bb.1:
	s_load_b64 s[2:3], s[0:1], 0x10
	v_mov_b32_e32 v3, 0
	s_add_u32 s12, s10, 8
	v_mov_b32_e32 v4, 0
	s_addc_u32 s13, s11, 0
	s_mov_b64 s[16:17], 1
	s_waitcnt lgkmcnt(0)
	s_add_u32 s14, s2, 8
	s_addc_u32 s15, s3, 0
.LBB0_2:                                ; =>This Inner Loop Header: Depth=1
	s_load_b64 s[18:19], s[14:15], 0x0
                                        ; implicit-def: $vgpr7_vgpr8
	s_mov_b32 s2, exec_lo
	s_waitcnt lgkmcnt(0)
	v_or_b32_e32 v2, s19, v6
	s_delay_alu instid0(VALU_DEP_1)
	v_cmpx_ne_u64_e32 0, v[1:2]
	s_xor_b32 s3, exec_lo, s2
	s_cbranch_execz .LBB0_4
; %bb.3:                                ;   in Loop: Header=BB0_2 Depth=1
	v_cvt_f32_u32_e32 v2, s18
	v_cvt_f32_u32_e32 v7, s19
	s_sub_u32 s2, 0, s18
	s_subb_u32 s20, 0, s19
	s_delay_alu instid0(VALU_DEP_1) | instskip(NEXT) | instid1(VALU_DEP_1)
	v_fmac_f32_e32 v2, 0x4f800000, v7
	v_rcp_f32_e32 v2, v2
	s_waitcnt_depctr 0xfff
	v_mul_f32_e32 v2, 0x5f7ffffc, v2
	s_delay_alu instid0(VALU_DEP_1) | instskip(NEXT) | instid1(VALU_DEP_1)
	v_mul_f32_e32 v7, 0x2f800000, v2
	v_trunc_f32_e32 v7, v7
	s_delay_alu instid0(VALU_DEP_1) | instskip(SKIP_1) | instid1(VALU_DEP_2)
	v_fmac_f32_e32 v2, 0xcf800000, v7
	v_cvt_u32_f32_e32 v7, v7
	v_cvt_u32_f32_e32 v2, v2
	s_delay_alu instid0(VALU_DEP_2) | instskip(NEXT) | instid1(VALU_DEP_2)
	v_mul_lo_u32 v8, s2, v7
	v_mul_hi_u32 v9, s2, v2
	v_mul_lo_u32 v10, s20, v2
	s_delay_alu instid0(VALU_DEP_2) | instskip(SKIP_1) | instid1(VALU_DEP_2)
	v_add_nc_u32_e32 v8, v9, v8
	v_mul_lo_u32 v9, s2, v2
	v_add_nc_u32_e32 v8, v8, v10
	s_delay_alu instid0(VALU_DEP_2) | instskip(NEXT) | instid1(VALU_DEP_2)
	v_mul_hi_u32 v10, v2, v9
	v_mul_lo_u32 v11, v2, v8
	v_mul_hi_u32 v12, v2, v8
	v_mul_hi_u32 v13, v7, v9
	v_mul_lo_u32 v9, v7, v9
	v_mul_hi_u32 v14, v7, v8
	v_mul_lo_u32 v8, v7, v8
	v_add_co_u32 v10, vcc_lo, v10, v11
	v_add_co_ci_u32_e32 v11, vcc_lo, 0, v12, vcc_lo
	s_delay_alu instid0(VALU_DEP_2) | instskip(NEXT) | instid1(VALU_DEP_2)
	v_add_co_u32 v9, vcc_lo, v10, v9
	v_add_co_ci_u32_e32 v9, vcc_lo, v11, v13, vcc_lo
	v_add_co_ci_u32_e32 v10, vcc_lo, 0, v14, vcc_lo
	s_delay_alu instid0(VALU_DEP_2) | instskip(NEXT) | instid1(VALU_DEP_2)
	v_add_co_u32 v8, vcc_lo, v9, v8
	v_add_co_ci_u32_e32 v9, vcc_lo, 0, v10, vcc_lo
	s_delay_alu instid0(VALU_DEP_2) | instskip(NEXT) | instid1(VALU_DEP_2)
	v_add_co_u32 v2, vcc_lo, v2, v8
	v_add_co_ci_u32_e32 v7, vcc_lo, v7, v9, vcc_lo
	s_delay_alu instid0(VALU_DEP_2) | instskip(SKIP_1) | instid1(VALU_DEP_3)
	v_mul_hi_u32 v8, s2, v2
	v_mul_lo_u32 v10, s20, v2
	v_mul_lo_u32 v9, s2, v7
	s_delay_alu instid0(VALU_DEP_1) | instskip(SKIP_1) | instid1(VALU_DEP_2)
	v_add_nc_u32_e32 v8, v8, v9
	v_mul_lo_u32 v9, s2, v2
	v_add_nc_u32_e32 v8, v8, v10
	s_delay_alu instid0(VALU_DEP_2) | instskip(NEXT) | instid1(VALU_DEP_2)
	v_mul_hi_u32 v10, v2, v9
	v_mul_lo_u32 v11, v2, v8
	v_mul_hi_u32 v12, v2, v8
	v_mul_hi_u32 v13, v7, v9
	v_mul_lo_u32 v9, v7, v9
	v_mul_hi_u32 v14, v7, v8
	v_mul_lo_u32 v8, v7, v8
	v_add_co_u32 v10, vcc_lo, v10, v11
	v_add_co_ci_u32_e32 v11, vcc_lo, 0, v12, vcc_lo
	s_delay_alu instid0(VALU_DEP_2) | instskip(NEXT) | instid1(VALU_DEP_2)
	v_add_co_u32 v9, vcc_lo, v10, v9
	v_add_co_ci_u32_e32 v9, vcc_lo, v11, v13, vcc_lo
	v_add_co_ci_u32_e32 v10, vcc_lo, 0, v14, vcc_lo
	s_delay_alu instid0(VALU_DEP_2) | instskip(NEXT) | instid1(VALU_DEP_2)
	v_add_co_u32 v8, vcc_lo, v9, v8
	v_add_co_ci_u32_e32 v9, vcc_lo, 0, v10, vcc_lo
	s_delay_alu instid0(VALU_DEP_2) | instskip(NEXT) | instid1(VALU_DEP_2)
	v_add_co_u32 v2, vcc_lo, v2, v8
	v_add_co_ci_u32_e32 v13, vcc_lo, v7, v9, vcc_lo
	s_delay_alu instid0(VALU_DEP_2) | instskip(SKIP_1) | instid1(VALU_DEP_3)
	v_mul_hi_u32 v14, v5, v2
	v_mad_u64_u32 v[9:10], null, v6, v2, 0
	v_mad_u64_u32 v[7:8], null, v5, v13, 0
	;; [unrolled: 1-line block ×3, first 2 shown]
	s_delay_alu instid0(VALU_DEP_2) | instskip(NEXT) | instid1(VALU_DEP_3)
	v_add_co_u32 v2, vcc_lo, v14, v7
	v_add_co_ci_u32_e32 v7, vcc_lo, 0, v8, vcc_lo
	s_delay_alu instid0(VALU_DEP_2) | instskip(NEXT) | instid1(VALU_DEP_2)
	v_add_co_u32 v2, vcc_lo, v2, v9
	v_add_co_ci_u32_e32 v2, vcc_lo, v7, v10, vcc_lo
	v_add_co_ci_u32_e32 v7, vcc_lo, 0, v12, vcc_lo
	s_delay_alu instid0(VALU_DEP_2) | instskip(NEXT) | instid1(VALU_DEP_2)
	v_add_co_u32 v2, vcc_lo, v2, v11
	v_add_co_ci_u32_e32 v9, vcc_lo, 0, v7, vcc_lo
	s_delay_alu instid0(VALU_DEP_2) | instskip(SKIP_1) | instid1(VALU_DEP_3)
	v_mul_lo_u32 v10, s19, v2
	v_mad_u64_u32 v[7:8], null, s18, v2, 0
	v_mul_lo_u32 v11, s18, v9
	s_delay_alu instid0(VALU_DEP_2) | instskip(NEXT) | instid1(VALU_DEP_2)
	v_sub_co_u32 v7, vcc_lo, v5, v7
	v_add3_u32 v8, v8, v11, v10
	s_delay_alu instid0(VALU_DEP_1) | instskip(NEXT) | instid1(VALU_DEP_1)
	v_sub_nc_u32_e32 v10, v6, v8
	v_subrev_co_ci_u32_e64 v10, s2, s19, v10, vcc_lo
	v_add_co_u32 v11, s2, v2, 2
	s_delay_alu instid0(VALU_DEP_1) | instskip(SKIP_3) | instid1(VALU_DEP_3)
	v_add_co_ci_u32_e64 v12, s2, 0, v9, s2
	v_sub_co_u32 v13, s2, v7, s18
	v_sub_co_ci_u32_e32 v8, vcc_lo, v6, v8, vcc_lo
	v_subrev_co_ci_u32_e64 v10, s2, 0, v10, s2
	v_cmp_le_u32_e32 vcc_lo, s18, v13
	s_delay_alu instid0(VALU_DEP_3) | instskip(SKIP_1) | instid1(VALU_DEP_4)
	v_cmp_eq_u32_e64 s2, s19, v8
	v_cndmask_b32_e64 v13, 0, -1, vcc_lo
	v_cmp_le_u32_e32 vcc_lo, s19, v10
	v_cndmask_b32_e64 v14, 0, -1, vcc_lo
	v_cmp_le_u32_e32 vcc_lo, s18, v7
	;; [unrolled: 2-line block ×3, first 2 shown]
	v_cndmask_b32_e64 v15, 0, -1, vcc_lo
	v_cmp_eq_u32_e32 vcc_lo, s19, v10
	s_delay_alu instid0(VALU_DEP_2) | instskip(SKIP_3) | instid1(VALU_DEP_3)
	v_cndmask_b32_e64 v7, v15, v7, s2
	v_cndmask_b32_e32 v10, v14, v13, vcc_lo
	v_add_co_u32 v13, vcc_lo, v2, 1
	v_add_co_ci_u32_e32 v14, vcc_lo, 0, v9, vcc_lo
	v_cmp_ne_u32_e32 vcc_lo, 0, v10
	s_delay_alu instid0(VALU_DEP_2) | instskip(NEXT) | instid1(VALU_DEP_4)
	v_cndmask_b32_e32 v8, v14, v12, vcc_lo
	v_cndmask_b32_e32 v10, v13, v11, vcc_lo
	v_cmp_ne_u32_e32 vcc_lo, 0, v7
	s_delay_alu instid0(VALU_DEP_2)
	v_dual_cndmask_b32 v7, v2, v10 :: v_dual_cndmask_b32 v8, v9, v8
.LBB0_4:                                ;   in Loop: Header=BB0_2 Depth=1
	s_and_not1_saveexec_b32 s2, s3
	s_cbranch_execz .LBB0_6
; %bb.5:                                ;   in Loop: Header=BB0_2 Depth=1
	v_cvt_f32_u32_e32 v2, s18
	s_sub_i32 s3, 0, s18
	s_delay_alu instid0(VALU_DEP_1) | instskip(SKIP_2) | instid1(VALU_DEP_1)
	v_rcp_iflag_f32_e32 v2, v2
	s_waitcnt_depctr 0xfff
	v_mul_f32_e32 v2, 0x4f7ffffe, v2
	v_cvt_u32_f32_e32 v2, v2
	s_delay_alu instid0(VALU_DEP_1) | instskip(NEXT) | instid1(VALU_DEP_1)
	v_mul_lo_u32 v7, s3, v2
	v_mul_hi_u32 v7, v2, v7
	s_delay_alu instid0(VALU_DEP_1) | instskip(NEXT) | instid1(VALU_DEP_1)
	v_add_nc_u32_e32 v2, v2, v7
	v_mul_hi_u32 v2, v5, v2
	s_delay_alu instid0(VALU_DEP_1) | instskip(SKIP_1) | instid1(VALU_DEP_2)
	v_mul_lo_u32 v7, v2, s18
	v_add_nc_u32_e32 v8, 1, v2
	v_sub_nc_u32_e32 v7, v5, v7
	s_delay_alu instid0(VALU_DEP_1) | instskip(SKIP_1) | instid1(VALU_DEP_2)
	v_subrev_nc_u32_e32 v9, s18, v7
	v_cmp_le_u32_e32 vcc_lo, s18, v7
	v_dual_cndmask_b32 v7, v7, v9 :: v_dual_cndmask_b32 v2, v2, v8
	s_delay_alu instid0(VALU_DEP_1) | instskip(NEXT) | instid1(VALU_DEP_2)
	v_cmp_le_u32_e32 vcc_lo, s18, v7
	v_add_nc_u32_e32 v8, 1, v2
	s_delay_alu instid0(VALU_DEP_1)
	v_dual_cndmask_b32 v7, v2, v8 :: v_dual_mov_b32 v8, v1
.LBB0_6:                                ;   in Loop: Header=BB0_2 Depth=1
	s_or_b32 exec_lo, exec_lo, s2
	s_load_b64 s[2:3], s[12:13], 0x0
	s_delay_alu instid0(VALU_DEP_1) | instskip(NEXT) | instid1(VALU_DEP_2)
	v_mul_lo_u32 v2, v8, s18
	v_mul_lo_u32 v11, v7, s19
	v_mad_u64_u32 v[9:10], null, v7, s18, 0
	s_add_u32 s16, s16, 1
	s_addc_u32 s17, s17, 0
	s_add_u32 s12, s12, 8
	s_addc_u32 s13, s13, 0
	;; [unrolled: 2-line block ×3, first 2 shown]
	s_delay_alu instid0(VALU_DEP_1) | instskip(SKIP_1) | instid1(VALU_DEP_2)
	v_add3_u32 v2, v10, v11, v2
	v_sub_co_u32 v9, vcc_lo, v5, v9
	v_sub_co_ci_u32_e32 v2, vcc_lo, v6, v2, vcc_lo
	s_waitcnt lgkmcnt(0)
	s_delay_alu instid0(VALU_DEP_2) | instskip(NEXT) | instid1(VALU_DEP_2)
	v_mul_lo_u32 v10, s3, v9
	v_mul_lo_u32 v2, s2, v2
	v_mad_u64_u32 v[5:6], null, s2, v9, v[3:4]
	v_cmp_ge_u64_e64 s2, s[16:17], s[6:7]
	s_delay_alu instid0(VALU_DEP_1) | instskip(NEXT) | instid1(VALU_DEP_2)
	s_and_b32 vcc_lo, exec_lo, s2
	v_add3_u32 v4, v10, v6, v2
	s_delay_alu instid0(VALU_DEP_3)
	v_mov_b32_e32 v3, v5
	s_cbranch_vccnz .LBB0_9
; %bb.7:                                ;   in Loop: Header=BB0_2 Depth=1
	v_dual_mov_b32 v5, v7 :: v_dual_mov_b32 v6, v8
	s_branch .LBB0_2
.LBB0_8:
	v_dual_mov_b32 v8, v6 :: v_dual_mov_b32 v7, v5
.LBB0_9:
	s_lshl_b64 s[2:3], s[6:7], 3
                                        ; implicit-def: $vgpr15
                                        ; implicit-def: $vgpr18
                                        ; implicit-def: $vgpr9
                                        ; implicit-def: $vgpr16
                                        ; implicit-def: $vgpr13
                                        ; implicit-def: $vgpr10
                                        ; implicit-def: $vgpr17
                                        ; implicit-def: $vgpr12
                                        ; implicit-def: $vgpr11
                                        ; implicit-def: $vgpr19
                                        ; implicit-def: $vgpr14
                                        ; implicit-def: $vgpr37
                                        ; implicit-def: $vgpr33
                                        ; implicit-def: $vgpr60
                                        ; implicit-def: $vgpr57
                                        ; implicit-def: $vgpr38
                                        ; implicit-def: $vgpr34
                                        ; implicit-def: $vgpr61
                                        ; implicit-def: $vgpr51
                                        ; implicit-def: $vgpr39
                                        ; implicit-def: $vgpr35
                                        ; implicit-def: $vgpr62
                                        ; implicit-def: $vgpr52
                                        ; implicit-def: $vgpr40
                                        ; implicit-def: $vgpr36
                                        ; implicit-def: $vgpr59
                                        ; implicit-def: $vgpr49
                                        ; implicit-def: $vgpr28
                                        ; implicit-def: $vgpr21
                                        ; implicit-def: $vgpr22
                                        ; implicit-def: $vgpr20
                                        ; implicit-def: $vgpr42
                                        ; implicit-def: $vgpr29
                                        ; implicit-def: $vgpr54
                                        ; implicit-def: $vgpr53
                                        ; implicit-def: $vgpr44
                                        ; implicit-def: $vgpr30
                                        ; implicit-def: $vgpr55
                                        ; implicit-def: $vgpr50
                                        ; implicit-def: $vgpr45
                                        ; implicit-def: $vgpr31
                                        ; implicit-def: $vgpr58
                                        ; implicit-def: $vgpr46
                                        ; implicit-def: $vgpr48
                                        ; implicit-def: $vgpr41
                                        ; implicit-def: $vgpr56
                                        ; implicit-def: $vgpr47
                                        ; implicit-def: $vgpr25
                                        ; implicit-def: $vgpr23
                                        ; implicit-def: $vgpr43
                                        ; implicit-def: $vgpr32
	s_delay_alu instid0(SALU_CYCLE_1)
	s_add_u32 s2, s10, s2
	s_addc_u32 s3, s11, s3
	s_load_b64 s[2:3], s[2:3], 0x0
	s_load_b64 s[0:1], s[0:1], 0x20
	s_waitcnt lgkmcnt(0)
	v_mul_lo_u32 v5, s2, v8
	v_mul_lo_u32 v6, s3, v7
	v_mad_u64_u32 v[1:2], null, s2, v7, v[3:4]
	v_mul_hi_u32 v3, 0x1e573ad, v0
	v_cmp_gt_u64_e32 vcc_lo, s[0:1], v[7:8]
                                        ; implicit-def: $vgpr4
                                        ; implicit-def: $vgpr8
                                        ; implicit-def: $vgpr7
	s_delay_alu instid0(VALU_DEP_3) | instskip(NEXT) | instid1(VALU_DEP_3)
	v_add3_u32 v2, v6, v2, v5
                                        ; implicit-def: $vgpr6
                                        ; implicit-def: $vgpr5
	v_mul_u32_u24_e32 v3, 0x87, v3
	s_delay_alu instid0(VALU_DEP_2) | instskip(NEXT) | instid1(VALU_DEP_2)
	v_lshlrev_b64 v[26:27], 2, v[1:2]
                                        ; implicit-def: $vgpr1
                                        ; implicit-def: $vgpr2
	v_sub_nc_u32_e32 v24, v0, v3
                                        ; implicit-def: $vgpr3
                                        ; implicit-def: $vgpr0
	s_and_saveexec_b32 s1, vcc_lo
	s_cbranch_execz .LBB0_11
; %bb.10:
	v_mov_b32_e32 v25, 0
	s_delay_alu instid0(VALU_DEP_3) | instskip(NEXT) | instid1(VALU_DEP_1)
	v_add_co_u32 v2, s0, s8, v26
	v_add_co_ci_u32_e64 v3, s0, s9, v27, s0
	s_delay_alu instid0(VALU_DEP_3) | instskip(NEXT) | instid1(VALU_DEP_1)
	v_lshlrev_b64 v[0:1], 2, v[24:25]
	v_add_co_u32 v2, s0, v2, v0
	s_delay_alu instid0(VALU_DEP_1)
	v_add_co_ci_u32_e64 v3, s0, v3, v1, s0
	s_clause 0x2
	global_load_b32 v32, v[2:3], off
	global_load_b32 v23, v[2:3], off offset:1620
	global_load_b32 v47, v[2:3], off offset:3240
	v_add_co_u32 v6, s0, 0x1000, v2
	s_delay_alu instid0(VALU_DEP_1) | instskip(SKIP_1) | instid1(VALU_DEP_1)
	v_add_co_ci_u32_e64 v7, s0, 0, v3, s0
	v_add_co_u32 v8, s0, 0x2000, v2
	v_add_co_ci_u32_e64 v9, s0, 0, v3, s0
	v_add_co_u32 v10, s0, 0x3000, v2
	global_load_b32 v46, v[6:7], off offset:2384
	v_add_co_ci_u32_e64 v11, s0, 0, v3, s0
	s_clause 0x19
	global_load_b32 v20, v[2:3], off offset:540
	global_load_b32 v21, v[2:3], off offset:2160
	;; [unrolled: 1-line block ×26, first 2 shown]
	s_waitcnt vmcnt(25)
	v_lshrrev_b32_e32 v22, 16, v20
	s_waitcnt vmcnt(24)
	v_lshrrev_b32_e32 v28, 16, v21
	;; [unrolled: 2-line block ×9, first 2 shown]
	v_lshrrev_b32_e32 v43, 16, v32
	v_lshrrev_b32_e32 v25, 16, v23
	;; [unrolled: 1-line block ×3, first 2 shown]
	s_waitcnt vmcnt(16)
	v_lshrrev_b32_e32 v54, 16, v53
	s_waitcnt vmcnt(15)
	v_lshrrev_b32_e32 v42, 16, v29
	;; [unrolled: 2-line block ×10, first 2 shown]
	v_lshrrev_b32_e32 v58, 16, v46
	v_lshrrev_b32_e32 v11, 16, v5
	;; [unrolled: 1-line block ×3, first 2 shown]
	s_waitcnt vmcnt(2)
	v_lshrrev_b32_e32 v10, 16, v7
	v_lshrrev_b32_e32 v16, 16, v13
	;; [unrolled: 1-line block ×3, first 2 shown]
	s_waitcnt vmcnt(0)
	v_lshrrev_b32_e32 v15, 16, v18
	v_lshrrev_b32_e32 v4, 16, v8
.LBB0_11:
	s_or_b32 exec_lo, exec_lo, s1
	v_add_f16_e32 v63, v50, v46
	v_add_f16_e32 v64, v47, v32
	v_sub_f16_e32 v65, v56, v54
	v_add_f16_e32 v69, v53, v47
	v_sub_f16_e32 v66, v58, v55
	v_fma_f16 v63, -0.5, v63, v32
	v_sub_f16_e32 v67, v47, v46
	v_sub_f16_e32 v68, v53, v50
	v_add_f16_e32 v64, v46, v64
	v_fmac_f16_e32 v32, -0.5, v69
	v_fmamk_f16 v71, v65, 0xbb9c, v63
	v_fmac_f16_e32 v63, 0x3b9c, v65
	v_add_f16_e32 v72, v56, v43
	v_sub_f16_e32 v70, v46, v47
	v_add_f16_e32 v67, v68, v67
	v_add_f16_e32 v64, v50, v64
	v_fmac_f16_e32 v71, 0xb8b4, v66
	v_sub_f16_e32 v68, v50, v53
	v_fmamk_f16 v69, v66, 0x3b9c, v32
	v_fmac_f16_e32 v63, 0x38b4, v66
	v_add_f16_e32 v73, v55, v58
	v_fmac_f16_e32 v32, 0xbb9c, v66
	v_add_f16_e32 v66, v58, v72
	v_add_f16_e32 v64, v53, v64
	;; [unrolled: 1-line block ×3, first 2 shown]
	v_fma_f16 v70, -0.5, v73, v43
	v_sub_f16_e32 v47, v47, v53
	v_add_f16_e32 v53, v55, v66
	v_add_f16_e32 v66, v54, v56
	v_fmac_f16_e32 v71, 0x34f2, v67
	v_fmac_f16_e32 v69, 0xb8b4, v65
	;; [unrolled: 1-line block ×4, first 2 shown]
	v_fmamk_f16 v65, v47, 0x3b9c, v70
	v_sub_f16_e32 v46, v46, v50
	v_sub_f16_e32 v50, v56, v58
	;; [unrolled: 1-line block ×3, first 2 shown]
	v_fmac_f16_e32 v43, -0.5, v66
	v_add_f16_e32 v66, v54, v53
	v_fmac_f16_e32 v70, 0xbb9c, v47
	v_sub_f16_e32 v53, v58, v56
	v_sub_f16_e32 v54, v55, v54
	v_add_f16_e32 v55, v41, v23
	v_fmac_f16_e32 v65, 0x38b4, v46
	v_add_f16_e32 v50, v67, v50
	v_fmamk_f16 v67, v46, 0xbb9c, v43
	v_fmac_f16_e32 v70, 0xb8b4, v46
	v_add_f16_e32 v53, v54, v53
	v_fmac_f16_e32 v43, 0x3b9c, v46
	v_add_f16_e32 v46, v31, v55
	v_add_f16_e32 v54, v30, v31
	v_fmac_f16_e32 v65, 0x34f2, v50
	v_fmac_f16_e32 v67, 0x38b4, v47
	;; [unrolled: 1-line block ×4, first 2 shown]
	v_add_f16_e32 v46, v30, v46
	v_fma_f16 v54, -0.5, v54, v23
	v_add_f16_e32 v47, v29, v41
	v_sub_f16_e32 v50, v48, v42
	v_fmac_f16_e32 v67, 0x34f2, v53
	v_fmac_f16_e32 v43, 0x34f2, v53
	v_add_f16_e32 v53, v29, v46
	v_sub_f16_e32 v46, v45, v44
	v_fmac_f16_e32 v23, -0.5, v47
	v_fmamk_f16 v55, v50, 0xbb9c, v54
	v_sub_f16_e32 v47, v41, v31
	v_sub_f16_e32 v56, v29, v30
	v_fmac_f16_e32 v54, 0x3b9c, v50
	v_fmac_f16_e32 v69, 0x34f2, v68
	v_fmac_f16_e32 v55, 0xb8b4, v46
	v_fmac_f16_e32 v32, 0x34f2, v68
	v_add_f16_e32 v47, v56, v47
	v_fmac_f16_e32 v54, 0x38b4, v46
	v_fmamk_f16 v58, v46, 0x3b9c, v23
	v_sub_f16_e32 v68, v31, v41
	v_sub_f16_e32 v72, v30, v29
	v_fmac_f16_e32 v23, 0xbb9c, v46
	v_fmac_f16_e32 v55, 0x34f2, v47
	v_add_f16_e32 v46, v44, v45
	v_fmac_f16_e32 v54, 0x34f2, v47
	v_add_f16_e32 v47, v42, v48
	;; [unrolled: 2-line block ×3, first 2 shown]
	v_fmac_f16_e32 v23, 0x38b4, v50
	v_fma_f16 v50, -0.5, v46, v25
	v_sub_f16_e32 v29, v41, v29
	v_add_f16_e32 v41, v48, v25
	v_sub_f16_e32 v30, v31, v30
	v_fmac_f16_e32 v25, -0.5, v47
	v_fmac_f16_e32 v58, 0x34f2, v56
	v_fmac_f16_e32 v23, 0x34f2, v56
	v_fmamk_f16 v31, v29, 0x3b9c, v50
	v_sub_f16_e32 v46, v48, v45
	v_sub_f16_e32 v47, v42, v44
	v_fmamk_f16 v56, v30, 0xbb9c, v25
	v_sub_f16_e32 v48, v45, v48
	v_sub_f16_e32 v68, v44, v42
	v_fmac_f16_e32 v25, 0x3b9c, v30
	v_fmac_f16_e32 v31, 0x38b4, v30
	v_add_f16_e32 v46, v47, v46
	v_fmac_f16_e32 v56, 0x38b4, v29
	v_add_f16_e32 v47, v68, v48
	v_fmac_f16_e32 v50, 0xbb9c, v29
	v_fmac_f16_e32 v25, 0xb8b4, v29
	v_add_f16_e32 v29, v45, v41
	v_fmac_f16_e32 v31, 0x34f2, v46
	v_fmac_f16_e32 v56, 0x34f2, v47
	;; [unrolled: 1-line block ×4, first 2 shown]
	v_add_f16_e32 v29, v44, v29
	v_mul_f16_e32 v41, 0xb8b4, v31
	v_mul_f16_e32 v44, 0xbb9c, v56
	v_fmac_f16_e32 v50, 0x34f2, v46
	v_mul_f16_e32 v68, 0xbb9c, v25
	v_mul_f16_e32 v73, 0x38b4, v55
	v_fmac_f16_e32 v41, 0x3a79, v55
	v_fmac_f16_e32 v44, 0x34f2, v58
	v_mul_f16_e32 v72, 0xb8b4, v50
	v_mul_f16_e32 v76, 0xba79, v50
	;; [unrolled: 1-line block ×3, first 2 shown]
	v_add_f16_e32 v46, v71, v41
	v_add_f16_e32 v47, v69, v44
	v_fmac_f16_e32 v72, 0xba79, v54
	v_fmac_f16_e32 v76, 0x38b4, v54
	v_sub_f16_e32 v54, v71, v41
	v_add_f16_e32 v41, v51, v52
	v_sub_f16_e32 v58, v69, v44
	v_add_f16_e32 v44, v49, v20
	v_add_f16_e32 v42, v42, v29
	v_fmac_f16_e32 v68, 0xb4f2, v23
	v_add_f16_e32 v45, v53, v64
	v_add_f16_e32 v50, v63, v72
	v_fmac_f16_e32 v73, 0x3a79, v31
	v_fmac_f16_e32 v74, 0x34f2, v56
	v_sub_f16_e32 v53, v64, v53
	v_sub_f16_e32 v56, v63, v72
	v_fma_f16 v63, -0.5, v41, v20
	v_sub_f16_e32 v64, v59, v60
	v_add_f16_e32 v44, v52, v44
	v_add_f16_e32 v69, v57, v49
	;; [unrolled: 1-line block ×3, first 2 shown]
	v_mul_f16_e32 v75, 0xb4f2, v25
	v_add_f16_e32 v25, v42, v66
	v_add_f16_e32 v29, v65, v73
	;; [unrolled: 1-line block ×3, first 2 shown]
	v_sub_f16_e32 v55, v32, v68
	v_sub_f16_e32 v32, v66, v42
	;; [unrolled: 1-line block ×4, first 2 shown]
	v_fmamk_f16 v65, v64, 0xbb9c, v63
	v_sub_f16_e32 v66, v62, v61
	v_sub_f16_e32 v67, v49, v52
	v_sub_f16_e32 v68, v57, v51
	v_add_f16_e32 v71, v51, v44
	v_fmac_f16_e32 v20, -0.5, v69
	v_fmac_f16_e32 v63, 0x3b9c, v64
	v_add_f16_e32 v72, v59, v22
	v_fmac_f16_e32 v75, 0x3b9c, v23
	v_add_f16_e32 v23, v70, v76
	;; [unrolled: 2-line block ×3, first 2 shown]
	v_sub_f16_e32 v44, v70, v76
	v_add_f16_e32 v68, v57, v71
	v_fmamk_f16 v69, v66, 0x3b9c, v20
	v_sub_f16_e32 v70, v52, v49
	v_sub_f16_e32 v71, v51, v57
	v_fmac_f16_e32 v63, 0x38b4, v66
	v_add_f16_e32 v73, v61, v62
	v_fmac_f16_e32 v20, 0xbb9c, v66
	v_add_f16_e32 v66, v62, v72
	v_add_f16_e32 v70, v71, v70
	v_sub_f16_e32 v49, v49, v57
	v_fma_f16 v71, -0.5, v73, v22
	v_fmac_f16_e32 v65, 0x34f2, v67
	v_add_f16_e32 v57, v61, v66
	v_add_f16_e32 v66, v60, v59
	v_fmac_f16_e32 v69, 0xb8b4, v64
	v_fmac_f16_e32 v63, 0x34f2, v67
	;; [unrolled: 1-line block ×3, first 2 shown]
	v_fmamk_f16 v64, v49, 0x3b9c, v71
	v_sub_f16_e32 v51, v52, v51
	v_sub_f16_e32 v52, v59, v62
	;; [unrolled: 1-line block ×3, first 2 shown]
	v_fmac_f16_e32 v22, -0.5, v66
	v_add_f16_e32 v57, v60, v57
	v_fmac_f16_e32 v71, 0xbb9c, v49
	v_sub_f16_e32 v59, v62, v59
	v_sub_f16_e32 v60, v61, v60
	v_add_f16_e32 v61, v36, v21
	v_fmac_f16_e32 v64, 0x38b4, v51
	v_add_f16_e32 v52, v67, v52
	v_fmamk_f16 v66, v51, 0xbb9c, v22
	v_fmac_f16_e32 v71, 0xb8b4, v51
	v_add_f16_e32 v59, v60, v59
	v_fmac_f16_e32 v22, 0x3b9c, v51
	v_add_f16_e32 v51, v35, v61
	v_add_f16_e32 v60, v34, v35
	v_fmac_f16_e32 v64, 0x34f2, v52
	v_fmac_f16_e32 v66, 0x38b4, v49
	;; [unrolled: 1-line block ×4, first 2 shown]
	v_add_f16_e32 v49, v34, v51
	v_fma_f16 v51, -0.5, v60, v21
	v_add_f16_e32 v52, v33, v36
	v_sub_f16_e32 v60, v40, v37
	v_fmac_f16_e32 v66, 0x34f2, v59
	v_fmac_f16_e32 v22, 0x34f2, v59
	v_sub_f16_e32 v59, v39, v38
	v_fmac_f16_e32 v21, -0.5, v52
	v_fmamk_f16 v52, v60, 0xbb9c, v51
	v_fmac_f16_e32 v51, 0x3b9c, v60
	v_sub_f16_e32 v61, v36, v35
	v_sub_f16_e32 v62, v33, v34
	v_fmamk_f16 v67, v59, 0x3b9c, v21
	v_fmac_f16_e32 v52, 0xb8b4, v59
	v_fmac_f16_e32 v51, 0x38b4, v59
	;; [unrolled: 1-line block ×3, first 2 shown]
	v_add_f16_e32 v59, v38, v39
	v_fmac_f16_e32 v69, 0x34f2, v70
	v_fmac_f16_e32 v20, 0x34f2, v70
	v_add_f16_e32 v49, v33, v49
	v_sub_f16_e32 v70, v35, v36
	v_sub_f16_e32 v72, v34, v33
	v_add_f16_e32 v61, v62, v61
	v_fmac_f16_e32 v67, 0xb8b4, v60
	v_fmac_f16_e32 v21, 0x38b4, v60
	v_add_f16_e32 v60, v37, v40
	v_fma_f16 v59, -0.5, v59, v28
	v_sub_f16_e32 v33, v36, v33
	v_add_f16_e32 v62, v72, v70
	v_fmac_f16_e32 v52, 0x34f2, v61
	v_fmac_f16_e32 v51, 0x34f2, v61
	v_add_f16_e32 v36, v40, v28
	v_sub_f16_e32 v34, v35, v34
	v_fmac_f16_e32 v28, -0.5, v60
	v_fmamk_f16 v35, v33, 0x3b9c, v59
	v_sub_f16_e32 v60, v40, v39
	v_sub_f16_e32 v61, v37, v38
	v_fmac_f16_e32 v67, 0x34f2, v62
	v_fmac_f16_e32 v21, 0x34f2, v62
	v_fmamk_f16 v62, v34, 0xbb9c, v28
	v_sub_f16_e32 v40, v39, v40
	v_sub_f16_e32 v70, v38, v37
	v_fmac_f16_e32 v28, 0x3b9c, v34
	v_fmac_f16_e32 v35, 0x38b4, v34
	v_add_f16_e32 v60, v61, v60
	v_fmac_f16_e32 v62, 0x38b4, v33
	v_add_f16_e32 v40, v70, v40
	v_fmac_f16_e32 v28, 0xb8b4, v33
	v_fmac_f16_e32 v59, 0xbb9c, v33
	;; [unrolled: 1-line block ×3, first 2 shown]
	v_add_f16_e32 v33, v39, v36
	v_fmac_f16_e32 v62, 0x34f2, v40
	v_fmac_f16_e32 v28, 0x34f2, v40
	;; [unrolled: 1-line block ×3, first 2 shown]
	v_mul_f16_e32 v34, 0xb8b4, v35
	v_add_f16_e32 v33, v38, v33
	v_mul_f16_e32 v36, 0xbb9c, v62
	v_mul_f16_e32 v38, 0xbb9c, v28
	v_fmac_f16_e32 v59, 0x34f2, v60
	v_fmac_f16_e32 v34, 0x3a79, v52
	v_mul_f16_e32 v52, 0x38b4, v52
	v_add_f16_e32 v33, v37, v33
	v_fmac_f16_e32 v36, 0x34f2, v67
	v_fmac_f16_e32 v38, 0xb4f2, v21
	v_mul_f16_e32 v37, 0xb8b4, v59
	v_add_f16_e32 v39, v49, v68
	v_mul_f16_e32 v67, 0x3b9c, v67
	v_mul_f16_e32 v59, 0xba79, v59
	v_fmac_f16_e32 v52, 0x3a79, v35
	v_sub_f16_e32 v35, v68, v49
	v_add_f16_e32 v49, v13, v12
	v_add_f16_e32 v61, v20, v38
	v_fmac_f16_e32 v37, 0xba79, v51
	v_mul_f16_e32 v28, 0xb4f2, v28
	v_fmac_f16_e32 v67, 0x34f2, v62
	v_fmac_f16_e32 v59, 0x38b4, v51
	v_add_f16_e32 v51, v64, v52
	v_sub_f16_e32 v20, v20, v38
	v_add_f16_e32 v38, v14, v0
	v_fma_f16 v49, -0.5, v49, v0
	v_sub_f16_e32 v62, v19, v15
	v_sub_f16_e32 v82, v64, v52
	v_add_f16_e32 v64, v18, v14
	v_add_f16_e32 v40, v65, v34
	;; [unrolled: 1-line block ×3, first 2 shown]
	v_fmac_f16_e32 v28, 0x3b9c, v21
	v_add_f16_e32 v21, v33, v57
	v_sub_f16_e32 v34, v65, v34
	v_sub_f16_e32 v37, v63, v37
	;; [unrolled: 1-line block ×3, first 2 shown]
	v_add_f16_e32 v33, v12, v38
	v_fmamk_f16 v38, v62, 0xbb9c, v49
	v_sub_f16_e32 v52, v17, v16
	v_sub_f16_e32 v57, v14, v12
	;; [unrolled: 1-line block ×3, first 2 shown]
	v_fmac_f16_e32 v0, -0.5, v64
	v_fmac_f16_e32 v49, 0x3b9c, v62
	v_add_f16_e32 v65, v19, v2
	v_add_f16_e32 v79, v22, v28
	v_sub_f16_e32 v22, v22, v28
	v_add_f16_e32 v28, v13, v33
	v_fmac_f16_e32 v38, 0xb8b4, v52
	v_add_f16_e32 v33, v63, v57
	v_fmamk_f16 v57, v52, 0x3b9c, v0
	v_fmac_f16_e32 v49, 0x38b4, v52
	v_fmac_f16_e32 v0, 0xbb9c, v52
	v_add_f16_e32 v52, v17, v65
	v_add_f16_e32 v78, v66, v67
	v_sub_f16_e32 v83, v66, v67
	v_add_f16_e32 v28, v18, v28
	v_sub_f16_e32 v63, v12, v14
	v_sub_f16_e32 v64, v13, v18
	v_add_f16_e32 v66, v16, v17
	v_sub_f16_e32 v14, v14, v18
	v_add_f16_e32 v18, v16, v52
	v_add_f16_e32 v52, v15, v19
	;; [unrolled: 1-line block ×3, first 2 shown]
	v_fma_f16 v64, -0.5, v66, v2
	v_sub_f16_e32 v12, v12, v13
	v_fmac_f16_e32 v38, 0x34f2, v33
	v_fmac_f16_e32 v2, -0.5, v52
	v_fmac_f16_e32 v57, 0xb8b4, v62
	v_fmac_f16_e32 v49, 0x34f2, v33
	;; [unrolled: 1-line block ×3, first 2 shown]
	v_fmamk_f16 v33, v14, 0x3b9c, v64
	v_sub_f16_e32 v13, v19, v17
	v_sub_f16_e32 v62, v15, v16
	v_add_f16_e32 v18, v15, v18
	v_fmac_f16_e32 v64, 0xbb9c, v14
	v_fmamk_f16 v52, v12, 0xbb9c, v2
	v_sub_f16_e32 v17, v17, v19
	v_sub_f16_e32 v15, v16, v15
	v_add_f16_e32 v16, v5, v1
	v_fmac_f16_e32 v2, 0x3b9c, v12
	v_fmac_f16_e32 v33, 0x38b4, v12
	v_add_f16_e32 v13, v62, v13
	v_fmac_f16_e32 v64, 0xb8b4, v12
	v_fmac_f16_e32 v52, 0x38b4, v14
	v_add_f16_e32 v15, v15, v17
	v_add_f16_e32 v12, v7, v16
	;; [unrolled: 1-line block ×3, first 2 shown]
	v_fmac_f16_e32 v2, 0xb8b4, v14
	v_add_f16_e32 v14, v8, v5
	v_fmac_f16_e32 v33, 0x34f2, v13
	v_fmac_f16_e32 v64, 0x34f2, v13
	;; [unrolled: 1-line block ×3, first 2 shown]
	v_fma_f16 v13, -0.5, v16, v1
	v_sub_f16_e32 v16, v11, v4
	v_fmac_f16_e32 v2, 0x34f2, v15
	v_sub_f16_e32 v15, v10, v9
	v_fmac_f16_e32 v1, -0.5, v14
	v_fmac_f16_e32 v57, 0x34f2, v63
	v_fmamk_f16 v14, v16, 0xbb9c, v13
	v_fmac_f16_e32 v13, 0x3b9c, v16
	v_fmac_f16_e32 v0, 0x34f2, v63
	v_fmamk_f16 v62, v15, 0x3b9c, v1
	v_fmac_f16_e32 v1, 0xbb9c, v15
	v_add_f16_e32 v12, v6, v12
	v_sub_f16_e32 v17, v5, v7
	v_sub_f16_e32 v19, v8, v6
	;; [unrolled: 1-line block ×4, first 2 shown]
	v_fmac_f16_e32 v14, 0xb8b4, v15
	v_fmac_f16_e32 v13, 0x38b4, v15
	;; [unrolled: 1-line block ×3, first 2 shown]
	v_add_f16_e32 v15, v9, v10
	v_fmac_f16_e32 v1, 0x38b4, v16
	v_add_f16_e32 v16, v4, v11
	v_add_f16_e32 v12, v8, v12
	;; [unrolled: 1-line block ×4, first 2 shown]
	v_fma_f16 v15, -0.5, v15, v3
	v_sub_f16_e32 v5, v5, v8
	v_add_f16_e32 v8, v11, v3
	v_sub_f16_e32 v6, v7, v6
	v_fmac_f16_e32 v3, -0.5, v16
	v_fmac_f16_e32 v62, 0x34f2, v19
	v_fmac_f16_e32 v1, 0x34f2, v19
	v_sub_f16_e32 v16, v11, v10
	v_sub_f16_e32 v11, v10, v11
	v_fmamk_f16 v19, v6, 0xbb9c, v3
	v_sub_f16_e32 v63, v9, v4
	v_fmac_f16_e32 v3, 0x3b9c, v6
	v_fmac_f16_e32 v14, 0x34f2, v17
	;; [unrolled: 1-line block ×3, first 2 shown]
	v_fmamk_f16 v7, v5, 0x3b9c, v15
	v_sub_f16_e32 v17, v4, v9
	v_add_f16_e32 v11, v63, v11
	v_fmac_f16_e32 v3, 0xb8b4, v5
	v_fmac_f16_e32 v15, 0xbb9c, v5
	;; [unrolled: 1-line block ×3, first 2 shown]
	v_add_f16_e32 v16, v17, v16
	v_fmac_f16_e32 v19, 0x38b4, v5
	v_add_f16_e32 v5, v10, v8
	v_fmac_f16_e32 v3, 0x34f2, v11
	v_fmac_f16_e32 v15, 0xb8b4, v6
	;; [unrolled: 1-line block ×4, first 2 shown]
	v_add_f16_e32 v5, v9, v5
	v_mul_f16_e32 v9, 0xbb9c, v3
	v_fmac_f16_e32 v15, 0x34f2, v16
	v_mul_f16_e32 v6, 0xb8b4, v7
	v_mul_f16_e32 v8, 0xbb9c, v19
	v_add_f16_e32 v4, v4, v5
	v_fmac_f16_e32 v9, 0xb4f2, v1
	v_mul_f16_e32 v5, 0xb8b4, v15
	v_fmac_f16_e32 v6, 0x3a79, v14
	v_fmac_f16_e32 v8, 0x34f2, v62
	v_mul_f16_e32 v3, 0xb4f2, v3
	v_add_f16_e32 v17, v0, v9
	v_mul_f16_e32 v15, 0xba79, v15
	v_sub_f16_e32 v0, v0, v9
	v_mul_u32_u24_e32 v9, 10, v24
	v_fmac_f16_e32 v5, 0xba79, v13
	v_mul_f16_e32 v14, 0x38b4, v14
	v_add_f16_e32 v60, v69, v36
	v_sub_f16_e32 v36, v69, v36
	v_add_f16_e32 v10, v12, v28
	v_add_f16_e32 v11, v38, v6
	;; [unrolled: 1-line block ×3, first 2 shown]
	v_mul_f16_e32 v62, 0x3b9c, v62
	v_fmac_f16_e32 v3, 0x3b9c, v1
	v_fmac_f16_e32 v15, 0x38b4, v13
	v_lshl_add_u32 v9, v9, 1, 0
	v_add_f16_e32 v63, v49, v5
	v_fmac_f16_e32 v14, 0x3a79, v7
	v_sub_f16_e32 v12, v28, v12
	v_sub_f16_e32 v6, v38, v6
	;; [unrolled: 1-line block ×4, first 2 shown]
	v_add_f16_e32 v80, v71, v59
	v_sub_f16_e32 v59, v71, v59
	v_fmac_f16_e32 v62, 0x34f2, v19
	v_add_f16_e32 v19, v2, v3
	v_add_f16_e32 v71, v64, v15
	v_sub_f16_e32 v2, v2, v3
	v_sub_f16_e32 v3, v64, v15
	v_pack_b32_f16 v15, v47, v48
	v_pack_b32_f16 v28, v45, v46
	v_add_nc_u32_e32 v48, 0xa94, v9
	v_pack_b32_f16 v34, v34, v36
	v_pack_b32_f16 v35, v70, v35
	v_add_nc_u32_e32 v49, 0x1518, v9
	v_pack_b32_f16 v16, v16, v17
	v_pack_b32_f16 v10, v10, v11
	v_add_f16_e32 v7, v33, v14
	v_sub_f16_e32 v14, v33, v14
	v_pack_b32_f16 v33, v54, v58
	v_pack_b32_f16 v38, v50, v53
	v_add_nc_u32_e32 v46, 0xa8c, v9
	v_pack_b32_f16 v47, v60, v61
	v_pack_b32_f16 v39, v39, v40
	v_add_nc_u32_e32 v11, 0x1520, v9
	v_pack_b32_f16 v6, v6, v8
	v_pack_b32_f16 v8, v63, v12
	v_pack_b32_f16 v45, v55, v56
	v_pack_b32_f16 v0, v0, v5
	v_pack_b32_f16 v20, v20, v37
	ds_store_2addr_b32 v9, v28, v15 offset1:1
	ds_store_2addr_b32 v9, v38, v33 offset0:2 offset1:3
	ds_store_b32 v9, v45 offset:16
	ds_store_b32 v9, v20 offset:2716
	ds_store_2addr_b32 v49, v10, v16 offset1:1
	ds_store_2addr_b32 v11, v8, v6 offset1:1
	;; [unrolled: 1-line block ×4, first 2 shown]
	ds_store_b32 v9, v0 offset:5416
	v_and_b32_e32 v34, 0xff, v24
	v_add_f16_e32 v31, v43, v75
	v_add_f16_e32 v1, v4, v18
	;; [unrolled: 1-line block ×3, first 2 shown]
	v_sub_f16_e32 v4, v18, v4
	v_sub_f16_e32 v18, v52, v62
	v_mul_lo_u16 v0, 0xcd, v34
	v_sub_f16_e32 v43, v43, v75
	v_mad_i32_i24 v28, 0xffffffee, v24, v9
	v_pack_b32_f16 v5, v30, v31
	v_pack_b32_f16 v6, v25, v29
	;; [unrolled: 1-line block ×5, first 2 shown]
	v_add_nc_u32_e32 v32, 0x87, v24
	v_lshrrev_b16 v40, 11, v0
	v_pack_b32_f16 v0, v41, v42
	v_pack_b32_f16 v7, v14, v18
	;; [unrolled: 1-line block ×6, first 2 shown]
	s_waitcnt lgkmcnt(0)
	s_barrier
	buffer_gl0_inv
	ds_load_u16 v60, v28 offset:3780
	ds_load_u16 v57, v28 offset:4050
	ds_load_u16 v39, v28
	ds_load_u16 v38, v28 offset:270
	ds_load_u16 v37, v28 offset:540
	;; [unrolled: 1-line block ×27, first 2 shown]
	s_waitcnt lgkmcnt(0)
	s_barrier
	buffer_gl0_inv
	ds_store_2addr_b32 v9, v6, v5 offset1:1
	ds_store_2addr_b32 v9, v8, v0 offset0:2 offset1:3
	ds_store_b32 v9, v10 offset:16
	ds_store_b32 v9, v21 offset:2716
	ds_store_2addr_b32 v49, v1, v13 offset1:1
	ds_store_2addr_b32 v11, v4, v7 offset1:1
	v_and_b32_e32 v4, 0xffff, v32
	v_mul_lo_u16 v15, v40, 10
	v_add_nc_u32_e32 v31, 0x10e, v24
	v_pack_b32_f16 v17, v82, v83
	v_pack_b32_f16 v20, v80, v81
	v_mul_u32_u24_e32 v4, 0xcccd, v4
	v_sub_nc_u16 v15, v24, v15
	v_and_b32_e32 v5, 0xffff, v31
	v_add_nc_u32_e32 v25, 0x195, v24
	v_pack_b32_f16 v12, v78, v79
	v_lshrrev_b32_e32 v42, 19, v4
	v_and_b32_e32 v41, 0xff, v15
	v_pack_b32_f16 v0, v2, v3
	ds_store_2addr_b32 v48, v20, v17 offset1:1
	ds_store_2addr_b32 v46, v16, v12 offset1:1
	ds_store_b32 v9, v0 offset:5416
	v_mul_lo_u16 v4, v42, 10
	v_lshlrev_b32_e32 v1, 4, v41
	s_waitcnt lgkmcnt(0)
	s_barrier
	buffer_gl0_inv
	v_sub_nc_u16 v4, v32, v4
	global_load_b128 v[0:3], v1, s[4:5]
	v_and_b32_e32 v9, 0xffff, v25
	v_add_nc_u32_e32 v29, 0x21c, v24
	v_add_nc_u32_e32 v30, 0x2a3, v24
	v_and_b32_e32 v44, 0xffff, v4
	v_mul_u32_u24_e32 v4, 0xcccd, v5
	v_mul_u32_u24_e32 v9, 0xcccd, v9
	v_and_b32_e32 v13, 0xffff, v29
	v_and_b32_e32 v17, 0xffff, v30
	v_lshlrev_b32_e32 v5, 4, v44
	v_lshrrev_b32_e32 v43, 19, v4
	v_lshrrev_b32_e32 v45, 19, v9
	global_load_b128 v[4:7], v5, s[4:5]
	v_mul_lo_u16 v8, v43, 10
	v_mul_lo_u16 v12, v45, 10
	s_delay_alu instid0(VALU_DEP_2) | instskip(NEXT) | instid1(VALU_DEP_2)
	v_sub_nc_u16 v8, v31, v8
	v_sub_nc_u16 v12, v25, v12
	s_delay_alu instid0(VALU_DEP_2) | instskip(NEXT) | instid1(VALU_DEP_2)
	v_and_b32_e32 v46, 0xffff, v8
	v_and_b32_e32 v47, 0xffff, v12
	v_mul_u32_u24_e32 v12, 0xcccd, v13
	s_delay_alu instid0(VALU_DEP_3) | instskip(NEXT) | instid1(VALU_DEP_3)
	v_lshlrev_b32_e32 v8, 4, v46
	v_lshlrev_b32_e32 v13, 4, v47
	s_delay_alu instid0(VALU_DEP_3) | instskip(SKIP_4) | instid1(VALU_DEP_1)
	v_lshrrev_b32_e32 v48, 19, v12
	s_clause 0x1
	global_load_b128 v[8:11], v8, s[4:5]
	global_load_b128 v[12:15], v13, s[4:5]
	v_mul_lo_u16 v16, v48, 10
	v_sub_nc_u16 v16, v29, v16
	s_delay_alu instid0(VALU_DEP_1) | instskip(SKIP_1) | instid1(VALU_DEP_2)
	v_and_b32_e32 v49, 0xffff, v16
	v_mul_u32_u24_e32 v16, 0xcccd, v17
	v_lshlrev_b32_e32 v17, 4, v49
	s_delay_alu instid0(VALU_DEP_2) | instskip(SKIP_2) | instid1(VALU_DEP_1)
	v_lshrrev_b32_e32 v50, 19, v16
	global_load_b128 v[20:23], v17, s[4:5]
	v_mul_lo_u16 v16, v50, 10
	v_sub_nc_u16 v16, v30, v16
	s_delay_alu instid0(VALU_DEP_1) | instskip(NEXT) | instid1(VALU_DEP_1)
	v_and_b32_e32 v51, 0xffff, v16
	v_lshlrev_b32_e32 v16, 4, v51
	global_load_b128 v[16:19], v16, s[4:5]
	ds_load_u16 v84, v28 offset:1620
	ds_load_u16 v83, v28 offset:3240
	;; [unrolled: 1-line block ×5, first 2 shown]
	ds_load_u16 v59, v28
	ds_load_u16 v71, v28 offset:270
	ds_load_u16 v78, v28 offset:540
	ds_load_u16 v79, v28 offset:810
	ds_load_u16 v86, v28 offset:1080
	ds_load_u16 v88, v28 offset:1350
	ds_load_u16 v90, v28 offset:3510
	ds_load_u16 v91, v28 offset:3780
	ds_load_u16 v92, v28 offset:4050
	ds_load_u16 v93, v28 offset:2160
	ds_load_u16 v94, v28 offset:2430
	ds_load_u16 v95, v28 offset:2700
	ds_load_u16 v96, v28 offset:2970
	s_waitcnt vmcnt(5)
	v_lshrrev_b32_e32 v87, 16, v0
	v_lshrrev_b32_e32 v85, 16, v1
	s_waitcnt lgkmcnt(17)
	s_delay_alu instid0(VALU_DEP_2)
	v_mul_f16_e32 v89, v84, v87
	v_mul_f16_e32 v87, v72, v87
	s_waitcnt lgkmcnt(16)
	v_mul_f16_e32 v97, v83, v85
	v_mul_f16_e32 v85, v73, v85
	v_fmac_f16_e32 v89, v72, v0
	v_lshrrev_b32_e32 v72, 16, v2
	v_fma_f16 v0, v84, v0, -v87
	v_lshrrev_b32_e32 v84, 16, v3
	v_fmac_f16_e32 v97, v73, v1
	ds_load_u16 v73, v28 offset:4320
	ds_load_u16 v87, v28 offset:5130
	;; [unrolled: 1-line block ×7, first 2 shown]
	s_waitcnt lgkmcnt(22)
	v_mul_f16_e32 v103, v82, v72
	v_fma_f16 v83, v83, v1, -v85
	v_mul_f16_e32 v1, v70, v72
	ds_load_u16 v72, v28 offset:6750
	ds_load_u16 v85, v28 offset:7020
	;; [unrolled: 1-line block ×5, first 2 shown]
	s_waitcnt lgkmcnt(26)
	v_mul_f16_e32 v107, v81, v84
	v_fmac_f16_e32 v103, v70, v2
	s_waitcnt vmcnt(4)
	v_lshrrev_b32_e32 v70, 16, v4
	v_mul_f16_e32 v84, v77, v84
	v_fma_f16 v82, v82, v2, -v1
	v_lshrrev_b32_e32 v1, 16, v5
	v_fmac_f16_e32 v107, v77, v3
	s_waitcnt lgkmcnt(25)
	v_mul_f16_e32 v77, v80, v70
	v_fma_f16 v81, v81, v3, -v84
	v_mul_f16_e32 v2, v66, v70
	v_lshrrev_b32_e32 v3, 16, v6
	s_waitcnt lgkmcnt(18)
	v_mul_f16_e32 v70, v90, v1
	v_mul_f16_e32 v1, v67, v1
	v_fmac_f16_e32 v77, v66, v4
	v_fma_f16 v66, v80, v4, -v2
	s_waitcnt lgkmcnt(10)
	v_mul_f16_e32 v80, v87, v3
	v_lshrrev_b32_e32 v2, 16, v7
	v_fmac_f16_e32 v70, v67, v5
	v_mul_f16_e32 v3, v68, v3
	v_fma_f16 v67, v90, v5, -v1
	s_waitcnt vmcnt(3)
	v_lshrrev_b32_e32 v1, 16, v8
	v_fmac_f16_e32 v80, v68, v6
	s_waitcnt lgkmcnt(4)
	v_mul_f16_e32 v5, v72, v2
	v_fma_f16 v6, v87, v6, -v3
	v_mul_f16_e32 v2, v76, v2
	v_lshrrev_b32_e32 v3, 16, v9
	v_mul_f16_e32 v68, v93, v1
	v_mul_f16_e32 v1, v63, v1
	v_fmac_f16_e32 v5, v76, v7
	v_fma_f16 v7, v72, v7, -v2
	v_mul_f16_e32 v72, v91, v3
	v_lshrrev_b32_e32 v2, 16, v10
	v_fmac_f16_e32 v68, v63, v8
	v_fma_f16 v8, v93, v8, -v1
	v_mul_f16_e32 v1, v60, v3
	v_fmac_f16_e32 v72, v60, v9
	v_lshrrev_b32_e32 v3, 16, v11
	v_mul_f16_e32 v60, v98, v2
	v_mul_f16_e32 v2, v64, v2
	v_fma_f16 v9, v91, v9, -v1
	s_waitcnt vmcnt(2)
	v_lshrrev_b32_e32 v1, 16, v12
	s_waitcnt lgkmcnt(3)
	v_mul_f16_e32 v63, v85, v3
	v_fmac_f16_e32 v60, v64, v10
	v_mul_f16_e32 v3, v75, v3
	v_fma_f16 v10, v98, v10, -v2
	v_mul_f16_e32 v64, v94, v1
	v_lshrrev_b32_e32 v2, 16, v13
	v_mul_f16_e32 v1, v61, v1
	v_fmac_f16_e32 v63, v75, v11
	v_fma_f16 v11, v85, v11, -v3
	v_fmac_f16_e32 v64, v61, v12
	v_lshrrev_b32_e32 v3, 16, v14
	v_mul_f16_e32 v61, v92, v2
	v_mul_f16_e32 v2, v57, v2
	v_fma_f16 v12, v94, v12, -v1
	v_lshrrev_b32_e32 v1, 16, v15
	v_mul_f16_e32 v75, v99, v3
	v_fmac_f16_e32 v61, v57, v13
	v_fma_f16 v13, v92, v13, -v2
	v_mul_f16_e32 v2, v62, v3
	s_waitcnt lgkmcnt(2)
	v_mul_f16_e32 v57, v104, v1
	s_waitcnt vmcnt(1)
	v_lshrrev_b32_e32 v3, 16, v20
	v_mul_f16_e32 v1, v74, v1
	v_fmac_f16_e32 v75, v62, v14
	v_fma_f16 v14, v99, v14, -v2
	v_fmac_f16_e32 v57, v74, v15
	v_lshrrev_b32_e32 v2, 16, v21
	v_mul_f16_e32 v62, v95, v3
	v_fma_f16 v15, v104, v15, -v1
	v_mul_f16_e32 v1, v56, v3
	v_lshrrev_b32_e32 v3, 16, v22
	v_mul_f16_e32 v74, v73, v2
	v_fmac_f16_e32 v62, v56, v20
	v_mul_f16_e32 v2, v55, v2
	v_fma_f16 v20, v95, v20, -v1
	v_lshrrev_b32_e32 v1, 16, v23
	v_mul_f16_e32 v56, v100, v3
	v_mul_f16_e32 v3, v58, v3
	v_fmac_f16_e32 v74, v55, v21
	v_fma_f16 v21, v73, v21, -v2
	s_waitcnt lgkmcnt(1)
	v_mul_f16_e32 v55, v105, v1
	v_fmac_f16_e32 v56, v58, v22
	v_mul_f16_e32 v1, v69, v1
	v_fma_f16 v22, v100, v22, -v3
	s_waitcnt vmcnt(0)
	v_lshrrev_b32_e32 v2, 16, v16
	v_lshrrev_b32_e32 v3, 16, v17
	v_fmac_f16_e32 v55, v69, v23
	v_fma_f16 v23, v105, v23, -v1
	v_lshrrev_b32_e32 v1, 16, v18
	v_mul_f16_e32 v58, v96, v2
	v_mul_f16_e32 v69, v102, v3
	;; [unrolled: 1-line block ×4, first 2 shown]
	v_lshrrev_b32_e32 v4, 16, v19
	v_fmac_f16_e32 v58, v53, v16
	v_fmac_f16_e32 v69, v54, v17
	v_fma_f16 v17, v102, v17, -v3
	v_mul_f16_e32 v53, v101, v1
	v_mul_f16_e32 v1, v52, v1
	v_add_f16_e32 v3, v39, v89
	v_fma_f16 v16, v96, v16, -v2
	v_add_f16_e32 v2, v97, v103
	v_fmac_f16_e32 v53, v52, v18
	v_fma_f16 v18, v101, v18, -v1
	v_add_f16_e32 v1, v3, v97
	v_add_f16_e32 v3, v89, v107
	s_waitcnt lgkmcnt(0)
	v_mul_f16_e32 v54, v106, v4
	v_fma_f16 v73, -0.5, v2, v39
	v_sub_f16_e32 v2, v0, v81
	v_mul_f16_e32 v4, v65, v4
	v_fmac_f16_e32 v39, -0.5, v3
	v_sub_f16_e32 v3, v97, v89
	v_sub_f16_e32 v84, v103, v107
	v_fmac_f16_e32 v54, v65, v19
	v_fmamk_f16 v52, v2, 0xbb9c, v73
	v_fma_f16 v19, v106, v19, -v4
	v_sub_f16_e32 v4, v83, v82
	v_sub_f16_e32 v65, v89, v97
	;; [unrolled: 1-line block ×3, first 2 shown]
	v_fmac_f16_e32 v73, 0x3b9c, v2
	v_add_f16_e32 v3, v3, v84
	v_add_f16_e32 v84, v59, v0
	;; [unrolled: 1-line block ×3, first 2 shown]
	v_fmac_f16_e32 v52, 0xb8b4, v4
	v_add_f16_e32 v65, v65, v76
	v_fmamk_f16 v76, v4, 0x3b9c, v39
	v_fmac_f16_e32 v73, 0x38b4, v4
	v_fmac_f16_e32 v39, 0xbb9c, v4
	v_add_f16_e32 v4, v83, v82
	v_add_f16_e32 v84, v84, v83
	;; [unrolled: 1-line block ×3, first 2 shown]
	v_fmac_f16_e32 v76, 0xb8b4, v2
	v_sub_f16_e32 v87, v89, v107
	v_fma_f16 v1, -0.5, v4, v59
	v_fmac_f16_e32 v39, 0x38b4, v2
	v_add_f16_e32 v4, v84, v82
	v_fmac_f16_e32 v52, 0x34f2, v65
	v_fmac_f16_e32 v73, 0x34f2, v65
	;; [unrolled: 1-line block ×3, first 2 shown]
	v_fmamk_f16 v2, v87, 0x3b9c, v1
	v_add_f16_e32 v65, v0, v81
	v_sub_f16_e32 v84, v97, v103
	v_sub_f16_e32 v89, v0, v83
	v_sub_f16_e32 v90, v81, v82
	v_fmac_f16_e32 v39, 0x34f2, v3
	v_add_f16_e32 v3, v4, v81
	v_fmac_f16_e32 v1, 0xbb9c, v87
	v_sub_f16_e32 v0, v83, v0
	v_sub_f16_e32 v81, v82, v81
	v_fmac_f16_e32 v59, -0.5, v65
	v_fmac_f16_e32 v2, 0x38b4, v84
	v_add_f16_e32 v65, v89, v90
	v_add_f16_e32 v82, v70, v80
	v_fmac_f16_e32 v1, 0xb8b4, v84
	v_add_f16_e32 v0, v0, v81
	v_add_f16_e32 v81, v38, v77
	v_fmamk_f16 v4, v84, 0xbb9c, v59
	v_fmac_f16_e32 v2, 0x34f2, v65
	v_fma_f16 v82, -0.5, v82, v38
	v_sub_f16_e32 v83, v66, v7
	v_fmac_f16_e32 v1, 0x34f2, v65
	v_fmac_f16_e32 v59, 0x3b9c, v84
	v_sub_f16_e32 v65, v77, v70
	v_sub_f16_e32 v84, v5, v80
	v_add_f16_e32 v81, v81, v70
	v_add_f16_e32 v89, v77, v5
	v_fmac_f16_e32 v4, 0x38b4, v87
	v_fmac_f16_e32 v59, 0xb8b4, v87
	v_fmamk_f16 v87, v83, 0xbb9c, v82
	v_add_f16_e32 v65, v65, v84
	v_sub_f16_e32 v84, v67, v6
	v_add_f16_e32 v81, v81, v80
	v_fmac_f16_e32 v38, -0.5, v89
	v_sub_f16_e32 v89, v70, v77
	v_sub_f16_e32 v90, v80, v5
	v_fmac_f16_e32 v82, 0x3b9c, v83
	v_fmac_f16_e32 v4, 0x34f2, v0
	;; [unrolled: 1-line block ×4, first 2 shown]
	v_add_f16_e32 v0, v81, v5
	v_add_f16_e32 v81, v89, v90
	v_fmamk_f16 v89, v84, 0x3b9c, v38
	v_fmac_f16_e32 v82, 0x38b4, v84
	v_fmac_f16_e32 v38, 0xbb9c, v84
	v_add_f16_e32 v84, v71, v66
	v_add_f16_e32 v90, v67, v6
	v_sub_f16_e32 v77, v77, v5
	v_fmac_f16_e32 v89, 0xb8b4, v83
	v_fmac_f16_e32 v87, 0x34f2, v65
	v_add_f16_e32 v84, v84, v67
	v_fma_f16 v5, -0.5, v90, v71
	v_fmac_f16_e32 v82, 0x34f2, v65
	v_fmac_f16_e32 v38, 0x38b4, v83
	v_sub_f16_e32 v70, v70, v80
	v_add_f16_e32 v65, v84, v6
	v_fmamk_f16 v83, v77, 0x3b9c, v5
	v_add_f16_e32 v84, v66, v7
	v_sub_f16_e32 v80, v66, v67
	v_sub_f16_e32 v90, v7, v6
	v_fmac_f16_e32 v5, 0xbb9c, v77
	v_add_f16_e32 v65, v65, v7
	v_fmac_f16_e32 v71, -0.5, v84
	v_fmac_f16_e32 v83, 0x38b4, v70
	v_add_f16_e32 v80, v80, v90
	v_sub_f16_e32 v66, v67, v66
	v_sub_f16_e32 v6, v6, v7
	v_add_f16_e32 v7, v72, v60
	v_fmac_f16_e32 v5, 0xb8b4, v70
	v_fmac_f16_e32 v89, 0x34f2, v81
	;; [unrolled: 1-line block ×3, first 2 shown]
	v_fmamk_f16 v81, v70, 0xbb9c, v71
	v_fmac_f16_e32 v83, 0x34f2, v80
	v_add_f16_e32 v6, v66, v6
	v_add_f16_e32 v66, v37, v68
	v_fma_f16 v7, -0.5, v7, v37
	v_sub_f16_e32 v67, v8, v11
	v_fmac_f16_e32 v5, 0x34f2, v80
	v_fmac_f16_e32 v71, 0x3b9c, v70
	v_sub_f16_e32 v70, v68, v72
	v_sub_f16_e32 v80, v63, v60
	v_add_f16_e32 v84, v68, v63
	v_fmac_f16_e32 v81, 0x38b4, v77
	v_fmac_f16_e32 v71, 0xb8b4, v77
	v_fmamk_f16 v77, v67, 0xbb9c, v7
	v_add_f16_e32 v70, v70, v80
	v_sub_f16_e32 v80, v9, v10
	v_fmac_f16_e32 v37, -0.5, v84
	v_sub_f16_e32 v84, v72, v68
	v_add_f16_e32 v66, v66, v72
	v_sub_f16_e32 v90, v60, v63
	v_fmac_f16_e32 v7, 0x3b9c, v67
	v_fmac_f16_e32 v81, 0x34f2, v6
	v_fmac_f16_e32 v71, 0x34f2, v6
	v_fmac_f16_e32 v77, 0xb8b4, v80
	v_add_f16_e32 v6, v66, v60
	v_add_f16_e32 v66, v84, v90
	v_fmamk_f16 v84, v80, 0x3b9c, v37
	v_fmac_f16_e32 v7, 0x38b4, v80
	v_fmac_f16_e32 v37, 0xbb9c, v80
	v_add_f16_e32 v80, v78, v8
	v_add_f16_e32 v6, v6, v63
	v_sub_f16_e32 v63, v68, v63
	v_add_f16_e32 v90, v9, v10
	v_fmac_f16_e32 v84, 0xb8b4, v67
	v_add_f16_e32 v68, v80, v9
	v_fmac_f16_e32 v37, 0x38b4, v67
	v_fmac_f16_e32 v77, 0x34f2, v70
	;; [unrolled: 1-line block ×3, first 2 shown]
	v_fma_f16 v70, -0.5, v90, v78
	v_add_f16_e32 v67, v68, v10
	v_add_f16_e32 v68, v8, v11
	v_sub_f16_e32 v60, v72, v60
	v_sub_f16_e32 v80, v8, v9
	;; [unrolled: 1-line block ×4, first 2 shown]
	v_fmac_f16_e32 v78, -0.5, v68
	v_sub_f16_e32 v9, v10, v11
	v_add_f16_e32 v10, v61, v75
	v_fmamk_f16 v72, v63, 0x3b9c, v70
	v_fmac_f16_e32 v70, 0xbb9c, v63
	v_fmamk_f16 v68, v60, 0xbb9c, v78
	v_fmac_f16_e32 v78, 0x3b9c, v60
	v_fma_f16 v10, -0.5, v10, v35
	v_fmac_f16_e32 v84, 0x34f2, v66
	v_fmac_f16_e32 v37, 0x34f2, v66
	;; [unrolled: 1-line block ×4, first 2 shown]
	v_sub_f16_e32 v63, v12, v15
	v_add_f16_e32 v66, v67, v11
	v_fmac_f16_e32 v72, 0x38b4, v60
	v_add_f16_e32 v67, v80, v90
	v_fmac_f16_e32 v70, 0xb8b4, v60
	v_add_f16_e32 v8, v8, v9
	v_add_f16_e32 v9, v35, v64
	v_sub_f16_e32 v11, v64, v61
	v_sub_f16_e32 v60, v57, v75
	v_fmamk_f16 v80, v63, 0xbb9c, v10
	v_sub_f16_e32 v90, v13, v14
	v_fmac_f16_e32 v10, 0x3b9c, v63
	v_fmac_f16_e32 v72, 0x34f2, v67
	v_fmac_f16_e32 v70, 0x34f2, v67
	v_add_f16_e32 v67, v64, v57
	v_add_f16_e32 v11, v11, v60
	;; [unrolled: 1-line block ×3, first 2 shown]
	v_fmac_f16_e32 v80, 0xb8b4, v90
	v_fmac_f16_e32 v10, 0x38b4, v90
	v_fmac_f16_e32 v35, -0.5, v67
	v_sub_f16_e32 v60, v61, v64
	v_sub_f16_e32 v67, v75, v57
	v_add_f16_e32 v9, v9, v75
	v_fmac_f16_e32 v80, 0x34f2, v11
	v_fmac_f16_e32 v10, 0x34f2, v11
	v_add_f16_e32 v11, v13, v14
	v_fmac_f16_e32 v68, 0x34f2, v8
	v_fmac_f16_e32 v78, 0x34f2, v8
	v_add_f16_e32 v8, v60, v67
	v_fmamk_f16 v60, v90, 0x3b9c, v35
	v_fmac_f16_e32 v35, 0xbb9c, v90
	v_add_f16_e32 v9, v9, v57
	v_sub_f16_e32 v57, v64, v57
	v_add_f16_e32 v64, v79, v12
	v_fma_f16 v11, -0.5, v11, v79
	v_fmac_f16_e32 v60, 0xb8b4, v63
	v_fmac_f16_e32 v35, 0x38b4, v63
	v_sub_f16_e32 v61, v61, v75
	v_add_f16_e32 v63, v64, v13
	v_add_f16_e32 v64, v12, v15
	v_sub_f16_e32 v67, v12, v13
	v_sub_f16_e32 v75, v15, v14
	v_fmamk_f16 v90, v57, 0x3b9c, v11
	v_fmac_f16_e32 v11, 0xbb9c, v57
	v_fmac_f16_e32 v60, 0x34f2, v8
	v_add_f16_e32 v63, v63, v14
	v_fmac_f16_e32 v35, 0x34f2, v8
	v_fmac_f16_e32 v79, -0.5, v64
	v_add_f16_e32 v8, v67, v75
	v_fmac_f16_e32 v90, 0x38b4, v61
	v_sub_f16_e32 v12, v13, v12
	v_sub_f16_e32 v13, v14, v15
	v_fmac_f16_e32 v11, 0xb8b4, v61
	v_add_f16_e32 v14, v74, v56
	v_add_f16_e32 v64, v63, v15
	v_fmamk_f16 v67, v61, 0xbb9c, v79
	v_fmac_f16_e32 v90, 0x34f2, v8
	v_add_f16_e32 v12, v12, v13
	v_fmac_f16_e32 v79, 0x3b9c, v61
	v_fmac_f16_e32 v11, 0x34f2, v8
	v_sub_f16_e32 v8, v62, v74
	v_sub_f16_e32 v13, v55, v56
	v_add_f16_e32 v15, v62, v55
	v_fma_f16 v14, -0.5, v14, v33
	v_sub_f16_e32 v61, v20, v23
	v_fmac_f16_e32 v67, 0x38b4, v57
	v_fmac_f16_e32 v79, 0xb8b4, v57
	v_add_f16_e32 v57, v33, v62
	v_add_f16_e32 v8, v8, v13
	v_fmac_f16_e32 v33, -0.5, v15
	v_sub_f16_e32 v13, v74, v62
	v_sub_f16_e32 v15, v56, v55
	v_fmamk_f16 v63, v61, 0xbb9c, v14
	v_sub_f16_e32 v75, v21, v22
	v_fmac_f16_e32 v14, 0x3b9c, v61
	v_fmac_f16_e32 v67, 0x34f2, v12
	v_add_f16_e32 v57, v57, v74
	v_fmac_f16_e32 v79, 0x34f2, v12
	v_add_f16_e32 v12, v13, v15
	v_fmac_f16_e32 v63, 0xb8b4, v75
	v_fmac_f16_e32 v14, 0x38b4, v75
	v_fmamk_f16 v15, v75, 0x3b9c, v33
	v_fmac_f16_e32 v33, 0xbb9c, v75
	v_add_f16_e32 v13, v57, v56
	v_fmac_f16_e32 v63, 0x34f2, v8
	v_fmac_f16_e32 v14, 0x34f2, v8
	;; [unrolled: 1-line block ×4, first 2 shown]
	v_add_f16_e32 v8, v21, v22
	v_add_f16_e32 v57, v20, v23
	;; [unrolled: 1-line block ×4, first 2 shown]
	v_sub_f16_e32 v55, v62, v55
	v_sub_f16_e32 v56, v74, v56
	v_fma_f16 v8, -0.5, v8, v86
	v_add_f16_e32 v61, v61, v21
	v_fmac_f16_e32 v86, -0.5, v57
	v_fmac_f16_e32 v15, 0x34f2, v12
	v_sub_f16_e32 v62, v20, v21
	v_sub_f16_e32 v74, v23, v22
	v_fmac_f16_e32 v33, 0x34f2, v12
	v_fmamk_f16 v12, v55, 0x3b9c, v8
	v_add_f16_e32 v61, v61, v22
	v_sub_f16_e32 v20, v21, v20
	v_fmac_f16_e32 v8, 0xbb9c, v55
	v_sub_f16_e32 v21, v22, v23
	v_fmamk_f16 v75, v56, 0xbb9c, v86
	v_add_f16_e32 v22, v69, v53
	v_fmac_f16_e32 v86, 0x3b9c, v56
	v_add_f16_e32 v57, v62, v74
	v_fmac_f16_e32 v12, 0x38b4, v56
	;; [unrolled: 2-line block ×3, first 2 shown]
	v_fma_f16 v22, -0.5, v22, v36
	v_sub_f16_e32 v23, v16, v19
	v_fmac_f16_e32 v75, 0x38b4, v55
	v_fmac_f16_e32 v86, 0xb8b4, v55
	v_add_f16_e32 v55, v58, v54
	v_add_f16_e32 v62, v36, v58
	v_fmac_f16_e32 v12, 0x34f2, v57
	v_add_f16_e32 v20, v20, v21
	v_fmac_f16_e32 v8, 0x34f2, v57
	v_sub_f16_e32 v21, v58, v69
	v_sub_f16_e32 v56, v54, v53
	v_fmamk_f16 v57, v23, 0xbb9c, v22
	v_sub_f16_e32 v61, v17, v18
	v_fmac_f16_e32 v22, 0x3b9c, v23
	v_fmac_f16_e32 v36, -0.5, v55
	v_add_f16_e32 v55, v62, v69
	v_add_f16_e32 v21, v21, v56
	v_fmac_f16_e32 v57, 0xb8b4, v61
	v_fmac_f16_e32 v22, 0x38b4, v61
	v_fmac_f16_e32 v75, 0x34f2, v20
	v_fmac_f16_e32 v86, 0x34f2, v20
	v_add_f16_e32 v20, v55, v53
	v_fmac_f16_e32 v57, 0x34f2, v21
	v_fmac_f16_e32 v22, 0x34f2, v21
	v_fmamk_f16 v21, v61, 0x3b9c, v36
	v_sub_f16_e32 v55, v69, v58
	v_sub_f16_e32 v56, v53, v54
	v_fmac_f16_e32 v36, 0xbb9c, v61
	v_add_f16_e32 v20, v20, v54
	v_sub_f16_e32 v54, v58, v54
	v_add_f16_e32 v58, v88, v16
	v_add_f16_e32 v55, v55, v56
	v_fmac_f16_e32 v21, 0xb8b4, v23
	v_add_f16_e32 v56, v17, v18
	v_fmac_f16_e32 v36, 0x38b4, v23
	v_add_f16_e32 v23, v58, v17
	v_add_f16_e32 v58, v16, v19
	v_sub_f16_e32 v53, v69, v53
	v_fma_f16 v69, -0.5, v56, v88
	v_fmac_f16_e32 v21, 0x34f2, v55
	v_add_f16_e32 v23, v23, v18
	v_fmac_f16_e32 v88, -0.5, v58
	v_fmac_f16_e32 v36, 0x34f2, v55
	v_sub_f16_e32 v55, v16, v17
	v_sub_f16_e32 v16, v17, v16
	;; [unrolled: 1-line block ×4, first 2 shown]
	v_fmamk_f16 v92, v54, 0x3b9c, v69
	v_fmac_f16_e32 v69, 0xbb9c, v54
	v_fmamk_f16 v93, v53, 0xbb9c, v88
	v_fmac_f16_e32 v88, 0x3b9c, v53
	v_add_f16_e32 v17, v55, v17
	v_fmac_f16_e32 v92, 0x38b4, v53
	v_fmac_f16_e32 v69, 0xb8b4, v53
	;; [unrolled: 1-line block ×3, first 2 shown]
	v_add_f16_e32 v16, v16, v18
	v_fmac_f16_e32 v88, 0xb8b4, v54
	v_and_b32_e32 v18, 0xffff, v40
	v_add_f16_e32 v91, v23, v19
	v_fmac_f16_e32 v92, 0x34f2, v17
	v_fmac_f16_e32 v69, 0x34f2, v17
	;; [unrolled: 1-line block ×4, first 2 shown]
	v_mul_u32_u24_e32 v16, 0x64, v18
	v_lshlrev_b32_e32 v17, 1, v41
	v_mul_u32_u24_e32 v18, 0x64, v42
	v_lshlrev_b32_e32 v19, 1, v44
	s_barrier
	s_delay_alu instid0(VALU_DEP_3) | instskip(SKIP_1) | instid1(VALU_DEP_3)
	v_add3_u32 v16, 0, v16, v17
	v_mul_u32_u24_e32 v17, 0x64, v43
	v_add3_u32 v42, 0, v18, v19
	v_lshlrev_b32_e32 v18, 1, v46
	buffer_gl0_inv
	ds_store_b16 v16, v85
	ds_store_b16 v16, v52 offset:20
	ds_store_b16 v16, v76 offset:40
	;; [unrolled: 1-line block ×4, first 2 shown]
	ds_store_b16 v42, v0
	ds_store_b16 v42, v87 offset:20
	ds_store_b16 v42, v89 offset:40
	;; [unrolled: 1-line block ×4, first 2 shown]
	v_add3_u32 v43, 0, v17, v18
	v_mul_u32_u24_e32 v17, 0x64, v45
	v_lshlrev_b32_e32 v18, 1, v47
	v_mul_u32_u24_e32 v0, 0x64, v48
	ds_store_b16 v43, v6
	ds_store_b16 v43, v77 offset:20
	ds_store_b16 v43, v84 offset:40
	;; [unrolled: 1-line block ×4, first 2 shown]
	v_lshlrev_b32_e32 v7, 1, v51
	v_add3_u32 v55, 0, v17, v18
	v_lshlrev_b32_e32 v17, 1, v49
	ds_store_b16 v55, v9
	ds_store_b16 v55, v80 offset:20
	ds_store_b16 v55, v60 offset:40
	;; [unrolled: 1-line block ×4, first 2 shown]
	v_add3_u32 v6, 0, v0, v17
	v_mul_u32_u24_e32 v0, 0x64, v50
	v_mul_lo_u16 v9, v34, 41
	v_add_nc_u32_e32 v37, 0x32a, v24
	v_add_nc_u32_e32 v34, 0x3b1, v24
	s_delay_alu instid0(VALU_DEP_4)
	v_add3_u32 v7, 0, v0, v7
	v_lshlrev_b32_e32 v0, 1, v24
	ds_store_b16 v6, v13
	ds_store_b16 v6, v63 offset:20
	ds_store_b16 v6, v15 offset:40
	ds_store_b16 v6, v33 offset:60
	ds_store_b16 v6, v14 offset:80
	ds_store_b16 v7, v20
	ds_store_b16 v7, v57 offset:20
	ds_store_b16 v7, v21 offset:40
	;; [unrolled: 1-line block ×4, first 2 shown]
	s_waitcnt lgkmcnt(0)
	s_barrier
	buffer_gl0_inv
	ds_load_u16 v38, v28
	ds_load_u16 v23, v28 offset:270
	ds_load_u16 v22, v28 offset:540
	;; [unrolled: 1-line block ×12, first 2 shown]
	v_add_nc_u32_e32 v33, 0, v0
	ds_load_u16 v60, v28 offset:2970
	ds_load_u16 v58, v28 offset:3240
	;; [unrolled: 1-line block ×17, first 2 shown]
	s_waitcnt lgkmcnt(0)
	s_barrier
	buffer_gl0_inv
	ds_store_b16 v16, v3
	ds_store_b16 v16, v2 offset:20
	ds_store_b16 v16, v4 offset:40
	;; [unrolled: 1-line block ×4, first 2 shown]
	v_lshrrev_b16 v2, 1, v32
	v_lshrrev_b16 v45, 11, v9
	;; [unrolled: 1-line block ×3, first 2 shown]
	ds_store_b16 v42, v65
	ds_store_b16 v42, v83 offset:20
	ds_store_b16 v42, v81 offset:40
	;; [unrolled: 1-line block ×4, first 2 shown]
	ds_store_b16 v43, v66
	ds_store_b16 v43, v72 offset:20
	ds_store_b16 v43, v68 offset:40
	;; [unrolled: 1-line block ×4, first 2 shown]
	v_and_b32_e32 v2, 0xffff, v2
	v_mul_lo_u16 v1, v45, 50
	ds_store_b16 v55, v64
	ds_store_b16 v55, v90 offset:20
	ds_store_b16 v55, v67 offset:40
	;; [unrolled: 1-line block ×4, first 2 shown]
	v_and_b32_e32 v11, 0xffff, v3
	v_lshrrev_b16 v3, 1, v25
	v_mul_u32_u24_e32 v2, 0x147b, v2
	v_sub_nc_u16 v1, v24, v1
	ds_store_b16 v6, v74
	ds_store_b16 v6, v12 offset:20
	ds_store_b16 v6, v75 offset:40
	;; [unrolled: 1-line block ×4, first 2 shown]
	v_mul_u32_u24_e32 v5, 0x147b, v11
	v_and_b32_e32 v9, 0xffff, v3
	v_lshrrev_b32_e32 v59, 17, v2
	v_and_b32_e32 v55, 0xff, v1
	v_lshrrev_b16 v8, 1, v30
	v_lshrrev_b32_e32 v64, 17, v5
	ds_store_b16 v7, v91
	ds_store_b16 v7, v92 offset:20
	ds_store_b16 v7, v93 offset:40
	ds_store_b16 v7, v88 offset:60
	ds_store_b16 v7, v69 offset:80
	v_mul_lo_u16 v4, v59, 50
	v_lshlrev_b32_e32 v1, 3, v55
	s_waitcnt lgkmcnt(0)
	s_barrier
	buffer_gl0_inv
	v_sub_nc_u16 v3, v32, v4
	v_mul_u32_u24_e32 v4, 0x147b, v9
	global_load_b64 v[1:2], v1, s[4:5] offset:160
	v_mul_lo_u16 v5, v64, 50
	v_and_b32_e32 v12, 0xffff, v8
	v_and_b32_e32 v65, 0xffff, v3
	v_lshrrev_b16 v3, 1, v29
	v_lshrrev_b32_e32 v66, 17, v4
	v_sub_nc_u16 v5, v31, v5
	v_mul_u32_u24_e32 v8, 0x147b, v12
	v_lshrrev_b16 v14, 1, v37
	v_and_b32_e32 v10, 0xffff, v3
	v_mul_lo_u16 v6, v66, 50
	v_and_b32_e32 v68, 0xffff, v5
	v_lshrrev_b32_e32 v69, 17, v8
	v_lshlrev_b32_e32 v4, 3, v65
	v_mul_u32_u24_e32 v7, 0x147b, v10
	v_sub_nc_u16 v5, v25, v6
	v_lshlrev_b32_e32 v6, 3, v68
	v_mul_lo_u16 v42, v69, 50
	global_load_b64 v[3:4], v4, s[4:5] offset:160
	v_lshrrev_b32_e32 v67, 17, v7
	v_and_b32_e32 v71, 0xffff, v5
	global_load_b64 v[5:6], v6, s[4:5] offset:160
	v_and_b32_e32 v14, 0xffff, v14
	v_lshrrev_b16 v36, 1, v34
	v_mul_lo_u16 v7, v67, 50
	v_lshlrev_b32_e32 v16, 3, v71
	v_sub_nc_u16 v42, v30, v42
	ds_load_u16 v94, v28 offset:2700
	v_and_b32_e32 v45, 0xffff, v45
	v_sub_nc_u16 v35, v29, v7
	global_load_b64 v[7:8], v16, s[4:5] offset:160
	v_and_b32_e32 v16, 0xffff, v36
	v_and_b32_e32 v74, 0xffff, v42
	v_lshlrev_b32_e32 v55, 1, v55
	v_and_b32_e32 v72, 0xffff, v35
	v_mul_u32_u24_e32 v35, 0x147b, v14
	v_mul_u32_u24_e32 v43, 0x147b, v16
	v_lshlrev_b32_e32 v75, 3, v74
	v_mul_u32_u24_e32 v45, 0x12c, v45
	v_lshlrev_b32_e32 v36, 3, v72
	v_lshrrev_b32_e32 v70, 17, v35
	v_add_nc_u32_e32 v35, 0x438, v24
	v_lshrrev_b32_e32 v73, 17, v43
	s_clause 0x1
	global_load_b64 v[84:85], v75, s[4:5] offset:160
	global_load_b64 v[82:83], v36, s[4:5] offset:160
	v_mul_lo_u16 v36, v70, 50
	v_lshrrev_b16 v42, 1, v35
	v_add3_u32 v121, 0, v45, v55
	v_lshlrev_b32_e32 v45, 1, v65
	v_mul_u32_u24_e32 v55, 0x12c, v59
	v_sub_nc_u16 v36, v37, v36
	v_and_b32_e32 v43, 0xffff, v42
	v_mul_lo_u16 v42, v73, 50
	v_mul_u32_u24_e32 v10, 0xda75, v10
	v_add3_u32 v122, 0, v55, v45
	v_and_b32_e32 v76, 0xffff, v36
	v_add_nc_u32_e32 v36, 0x4bf, v24
	v_sub_nc_u16 v42, v34, v42
	v_mul_u32_u24_e32 v75, 0x147b, v43
	v_lshlrev_b32_e32 v45, 1, v71
	v_lshlrev_b32_e32 v77, 3, v76
	v_lshrrev_b16 v78, 1, v36
	v_and_b32_e32 v80, 0xffff, v42
	v_lshrrev_b32_e32 v75, 17, v75
	v_mul_u32_u24_e32 v12, 0xda75, v12
	global_load_b64 v[86:87], v77, s[4:5] offset:160
	v_and_b32_e32 v42, 0xffff, v78
	v_lshlrev_b32_e32 v78, 3, v80
	v_mul_u32_u24_e32 v14, 0xda75, v14
	v_mul_u32_u24_e32 v16, 0xda75, v16
	;; [unrolled: 1-line block ×4, first 2 shown]
	global_load_b64 v[88:89], v78, s[4:5] offset:160
	v_mul_lo_u16 v77, v75, 50
	v_mul_u32_u24_e32 v42, 0xda75, v42
	v_lshrrev_b32_e32 v43, 22, v43
	s_delay_alu instid0(VALU_DEP_3) | instskip(SKIP_1) | instid1(VALU_DEP_4)
	v_sub_nc_u16 v81, v35, v77
	v_lshrrev_b32_e32 v77, 17, v79
	v_lshrrev_b32_e32 v42, 22, v42
	s_delay_alu instid0(VALU_DEP_3) | instskip(NEXT) | instid1(VALU_DEP_3)
	v_and_b32_e32 v78, 0xffff, v81
	v_mul_lo_u16 v79, v77, 50
	s_delay_alu instid0(VALU_DEP_3) | instskip(NEXT) | instid1(VALU_DEP_3)
	v_mul_lo_u16 v42, 0x96, v42
	v_lshlrev_b32_e32 v81, 3, v78
	s_delay_alu instid0(VALU_DEP_3) | instskip(NEXT) | instid1(VALU_DEP_3)
	v_sub_nc_u16 v79, v36, v79
	v_sub_nc_u16 v42, v36, v42
	global_load_b64 v[90:91], v81, s[4:5] offset:160
	v_and_b32_e32 v79, 0xffff, v79
	v_and_b32_e32 v42, 0xffff, v42
	s_delay_alu instid0(VALU_DEP_2)
	v_lshlrev_b32_e32 v81, 3, v79
	global_load_b64 v[92:93], v81, s[4:5] offset:160
	ds_load_u16 v96, v28 offset:5400
	ds_load_u16 v81, v28 offset:1620
	s_waitcnt vmcnt(9)
	v_lshrrev_b32_e32 v95, 16, v1
	v_lshrrev_b32_e32 v98, 16, v2
	s_waitcnt lgkmcnt(2)
	s_delay_alu instid0(VALU_DEP_2)
	v_mul_f16_e32 v97, v94, v95
	v_mul_f16_e32 v95, v61, v95
	s_waitcnt lgkmcnt(1)
	v_mul_f16_e32 v104, v96, v98
	v_mul_f16_e32 v98, v63, v98
	v_fmac_f16_e32 v97, v61, v1
	ds_load_u16 v61, v28 offset:2970
	v_fma_f16 v1, v94, v1, -v95
	ds_load_u16 v94, v28 offset:5670
	ds_load_u16 v95, v28 offset:5940
	;; [unrolled: 1-line block ×14, first 2 shown]
	v_fmac_f16_e32 v104, v63, v2
	v_fma_f16 v2, v96, v2, -v98
	s_waitcnt vmcnt(8)
	v_lshrrev_b32_e32 v106, 16, v3
	v_lshrrev_b32_e32 v114, 16, v4
	s_waitcnt vmcnt(7)
	v_lshrrev_b32_e32 v96, 16, v5
	s_delay_alu instid0(VALU_DEP_3) | instskip(SKIP_4) | instid1(VALU_DEP_2)
	v_mul_f16_e32 v63, v60, v106
	s_waitcnt lgkmcnt(14)
	v_mul_f16_e32 v113, v61, v106
	s_waitcnt lgkmcnt(6)
	v_mul_f16_e32 v98, v105, v96
	v_fmac_f16_e32 v113, v60, v3
	v_mul_f16_e32 v60, v94, v114
	v_fma_f16 v3, v61, v3, -v63
	v_mul_f16_e32 v61, v62, v114
	v_lshrrev_b32_e32 v63, 16, v6
	v_fmac_f16_e32 v98, v58, v5
	v_fmac_f16_e32 v60, v62, v4
	v_mul_f16_e32 v62, v58, v96
	v_fma_f16 v4, v94, v4, -v61
	v_mul_f16_e32 v94, v95, v63
	s_waitcnt vmcnt(6)
	v_lshrrev_b32_e32 v61, 16, v7
	v_mul_f16_e32 v58, v56, v63
	v_fma_f16 v5, v105, v5, -v62
	v_fmac_f16_e32 v94, v56, v6
	s_waitcnt lgkmcnt(5)
	v_mul_f16_e32 v96, v107, v61
	v_lshrrev_b32_e32 v56, 16, v8
	v_fma_f16 v6, v95, v6, -v58
	s_waitcnt vmcnt(4)
	v_lshrrev_b32_e32 v58, 16, v82
	v_mul_f16_e32 v61, v57, v61
	v_fmac_f16_e32 v96, v57, v7
	v_mul_f16_e32 v95, v99, v56
	v_mul_f16_e32 v56, v53, v56
	s_waitcnt lgkmcnt(4)
	v_mul_f16_e32 v105, v108, v58
	v_lshrrev_b32_e32 v57, 16, v83
	v_fma_f16 v7, v107, v7, -v61
	v_fmac_f16_e32 v95, v53, v8
	v_mul_f16_e32 v53, v54, v58
	v_fma_f16 v8, v99, v8, -v56
	v_fmac_f16_e32 v105, v54, v82
	v_mul_f16_e32 v99, v100, v57
	v_lshrrev_b32_e32 v54, 16, v84
	v_fma_f16 v53, v108, v82, -v53
	v_mul_f16_e32 v56, v51, v57
	v_lshrrev_b32_e32 v57, 16, v85
	v_fmac_f16_e32 v99, v51, v83
	s_waitcnt lgkmcnt(3)
	v_mul_f16_e32 v82, v109, v54
	v_mul_f16_e32 v51, v52, v54
	s_waitcnt vmcnt(3)
	v_lshrrev_b32_e32 v54, 16, v86
	v_fma_f16 v83, v100, v83, -v56
	v_mul_f16_e32 v100, v101, v57
	v_fmac_f16_e32 v82, v52, v84
	v_fma_f16 v84, v109, v84, -v51
	v_mul_f16_e32 v51, v49, v57
	s_waitcnt lgkmcnt(2)
	v_mul_f16_e32 v106, v110, v54
	v_fmac_f16_e32 v100, v49, v85
	ds_load_u16 v52, v28 offset:7290
	v_lshrrev_b32_e32 v49, 16, v87
	v_fma_f16 v85, v101, v85, -v51
	v_mul_f16_e32 v51, v50, v54
	s_waitcnt vmcnt(2)
	v_lshrrev_b32_e32 v54, 16, v88
	v_fmac_f16_e32 v106, v50, v86
	ds_load_u16 v50, v28 offset:7560
	v_mul_f16_e32 v101, v102, v49
	v_mul_f16_e32 v49, v47, v49
	s_waitcnt lgkmcnt(3)
	v_mul_f16_e32 v107, v111, v54
	v_fma_f16 v86, v110, v86, -v51
	v_mul_f16_e32 v51, v48, v54
	v_fmac_f16_e32 v101, v47, v87
	v_fma_f16 v87, v102, v87, -v49
	v_fmac_f16_e32 v107, v48, v88
	s_waitcnt vmcnt(1)
	v_lshrrev_b32_e32 v48, 16, v90
	ds_load_u16 v49, v28 offset:7830
	ds_load_u16 v102, v33 offset:2430
	ds_load_u16 v108, v33 offset:1890
	v_lshrrev_b32_e32 v47, 16, v89
	v_fma_f16 v88, v111, v88, -v51
	v_lshrrev_b32_e32 v51, 16, v91
	s_waitcnt lgkmcnt(5)
	v_mul_f16_e32 v110, v112, v48
	v_mul_f16_e32 v48, v44, v48
	s_waitcnt lgkmcnt(4)
	v_mul_f16_e32 v109, v52, v47
	v_mul_f16_e32 v47, v46, v47
	v_add_f16_e32 v54, v82, v100
	v_fmac_f16_e32 v110, v44, v90
	s_waitcnt lgkmcnt(3)
	v_mul_f16_e32 v111, v50, v51
	s_waitcnt vmcnt(0)
	v_lshrrev_b32_e32 v44, 16, v92
	v_fma_f16 v90, v112, v90, -v48
	ds_load_u16 v112, v28
	v_fmac_f16_e32 v109, v46, v89
	v_mul_f16_e32 v46, v41, v51
	v_fmac_f16_e32 v111, v41, v91
	v_lshrrev_b32_e32 v41, 16, v93
	v_mul_f16_e32 v114, v103, v44
	v_mul_f16_e32 v44, v39, v44
	v_fma_f16 v89, v52, v89, -v47
	v_fma_f16 v91, v50, v91, -v46
	s_waitcnt lgkmcnt(3)
	v_mul_f16_e32 v115, v49, v41
	v_mul_f16_e32 v41, v40, v41
	v_fmac_f16_e32 v114, v39, v92
	v_add_f16_e32 v39, v97, v104
	v_fma_f16 v92, v103, v92, -v44
	v_fmac_f16_e32 v115, v40, v93
	v_fma_f16 v93, v49, v93, -v41
	v_add_f16_e32 v40, v38, v97
	v_fmac_f16_e32 v38, -0.5, v39
	v_sub_f16_e32 v41, v1, v2
	v_add_f16_e32 v39, v1, v2
	s_waitcnt lgkmcnt(0)
	v_add_f16_e32 v1, v112, v1
	v_add_f16_e32 v46, v98, v94
	;; [unrolled: 1-line block ×3, first 2 shown]
	v_fmamk_f16 v44, v41, 0xbaee, v38
	v_fmac_f16_e32 v38, 0x3aee, v41
	v_add_f16_e32 v41, v113, v60
	v_fmac_f16_e32 v112, -0.5, v39
	v_add_f16_e32 v39, v40, v104
	v_add_f16_e32 v49, v96, v95
	;; [unrolled: 1-line block ×4, first 2 shown]
	v_sub_f16_e32 v40, v97, v104
	v_fmac_f16_e32 v23, -0.5, v41
	v_sub_f16_e32 v41, v3, v4
	ds_load_u16 v103, v28 offset:270
	ds_load_u16 v116, v28 offset:540
	;; [unrolled: 1-line block ×5, first 2 shown]
	v_add_f16_e32 v48, v22, v98
	v_fmac_f16_e32 v22, -0.5, v46
	v_sub_f16_e32 v46, v5, v6
	v_add_f16_e32 v51, v21, v96
	v_fmac_f16_e32 v21, -0.5, v49
	v_sub_f16_e32 v49, v7, v8
	;; [unrolled: 3-line block ×5, first 2 shown]
	v_add_f16_e32 v61, v107, v109
	ds_load_u16 v123, v33 offset:2160
	s_waitcnt lgkmcnt(0)
	s_barrier
	buffer_gl0_inv
	ds_store_b16 v121, v39
	ds_store_b16 v121, v44 offset:100
	ds_store_b16 v121, v38 offset:200
	v_add_f16_e32 v38, v47, v60
	v_lshlrev_b32_e32 v39, 1, v68
	v_mul_u32_u24_e32 v44, 0x12c, v64
	v_add_f16_e32 v1, v1, v2
	v_fmamk_f16 v2, v40, 0x3aee, v112
	v_fmac_f16_e32 v112, 0xbaee, v40
	v_fmamk_f16 v40, v41, 0xbaee, v23
	v_fmac_f16_e32 v23, 0x3aee, v41
	v_mul_u32_u24_e32 v47, 0x12c, v66
	v_fmamk_f16 v41, v46, 0xbaee, v22
	v_fmac_f16_e32 v22, 0x3aee, v46
	v_fmamk_f16 v46, v49, 0xbaee, v21
	v_fmac_f16_e32 v21, 0x3aee, v49
	;; [unrolled: 2-line block ×5, first 2 shown]
	v_add_f16_e32 v56, v19, v107
	v_fmac_f16_e32 v19, -0.5, v61
	v_sub_f16_e32 v61, v88, v89
	ds_store_b16 v122, v38
	ds_store_b16 v122, v40 offset:100
	ds_store_b16 v122, v23 offset:200
	v_add3_u32 v64, 0, v44, v39
	v_add_f16_e32 v23, v48, v94
	v_add3_u32 v68, 0, v47, v45
	v_lshlrev_b32_e32 v38, 1, v72
	v_mul_u32_u24_e32 v39, 0x12c, v67
	v_add_f16_e32 v40, v51, v95
	v_fmamk_f16 v62, v61, 0xbaee, v19
	v_fmac_f16_e32 v19, 0x3aee, v61
	v_add_f16_e32 v61, v110, v111
	ds_store_b16 v64, v23
	ds_store_b16 v64, v41 offset:100
	ds_store_b16 v64, v22 offset:200
	v_lshlrev_b32_e32 v22, 1, v74
	v_mul_u32_u24_e32 v23, 0x12c, v69
	v_add3_u32 v67, 0, v39, v38
	ds_store_b16 v68, v40
	ds_store_b16 v68, v46 offset:100
	ds_store_b16 v68, v21 offset:200
	v_add_f16_e32 v21, v52, v99
	v_add_f16_e32 v63, v17, v110
	v_fmac_f16_e32 v17, -0.5, v61
	v_sub_f16_e32 v61, v90, v91
	v_add3_u32 v69, 0, v23, v22
	v_lshlrev_b32_e32 v22, 1, v76
	v_mul_u32_u24_e32 v23, 0x12c, v70
	v_add_f16_e32 v38, v57, v100
	ds_store_b16 v67, v21
	ds_store_b16 v67, v49 offset:100
	ds_store_b16 v67, v20 offset:200
	v_lshlrev_b32_e32 v20, 1, v80
	v_mul_u32_u24_e32 v21, 0x12c, v73
	v_fmamk_f16 v97, v61, 0xbaee, v17
	v_fmac_f16_e32 v17, 0x3aee, v61
	v_add_f16_e32 v61, v114, v115
	v_add3_u32 v70, 0, v23, v22
	ds_store_b16 v69, v38
	ds_store_b16 v69, v50 offset:100
	ds_store_b16 v69, v18 offset:200
	v_add_f16_e32 v18, v58, v101
	v_add3_u32 v71, 0, v21, v20
	v_lshlrev_b32_e32 v20, 1, v78
	v_mul_u32_u24_e32 v21, 0x12c, v75
	v_add_f16_e32 v104, v15, v114
	v_fmac_f16_e32 v15, -0.5, v61
	v_sub_f16_e32 v61, v92, v93
	v_lshlrev_b32_e32 v22, 1, v79
	v_mul_u32_u24_e32 v23, 0x12c, v77
	ds_store_b16 v70, v18
	ds_store_b16 v70, v54 offset:100
	ds_store_b16 v70, v13 offset:200
	v_add_f16_e32 v13, v56, v109
	v_add3_u32 v72, 0, v21, v20
	v_add_f16_e32 v18, v63, v111
	v_fmamk_f16 v120, v61, 0xbaee, v15
	v_fmac_f16_e32 v15, 0x3aee, v61
	v_add3_u32 v73, 0, v23, v22
	v_add_f16_e32 v20, v104, v115
	ds_store_b16 v71, v13
	ds_store_b16 v71, v62 offset:100
	ds_store_b16 v71, v19 offset:200
	ds_store_b16 v72, v18
	ds_store_b16 v72, v97 offset:100
	ds_store_b16 v72, v17 offset:200
	;; [unrolled: 3-line block ×3, first 2 shown]
	v_add_f16_e32 v13, v3, v4
	v_add_f16_e32 v3, v103, v3
	s_waitcnt lgkmcnt(0)
	s_barrier
	buffer_gl0_inv
	v_fmac_f16_e32 v103, -0.5, v13
	v_sub_f16_e32 v13, v113, v60
	ds_load_u16 v41, v28
	ds_load_u16 v40, v28 offset:270
	ds_load_u16 v23, v28 offset:540
	;; [unrolled: 1-line block ×29, first 2 shown]
	s_waitcnt lgkmcnt(0)
	s_barrier
	buffer_gl0_inv
	v_add_f16_e32 v3, v3, v4
	ds_store_b16 v121, v1
	ds_store_b16 v121, v2 offset:100
	ds_store_b16 v121, v112 offset:200
	v_add_f16_e32 v1, v5, v6
	v_add_f16_e32 v2, v7, v8
	v_fmamk_f16 v4, v13, 0x3aee, v103
	v_fmac_f16_e32 v103, 0xbaee, v13
	ds_store_b16 v122, v3
	ds_store_b16 v122, v4 offset:100
	ds_store_b16 v122, v103 offset:200
	v_add_f16_e32 v3, v116, v5
	v_fmac_f16_e32 v116, -0.5, v1
	v_sub_f16_e32 v1, v98, v94
	v_add_f16_e32 v4, v117, v7
	v_fmac_f16_e32 v117, -0.5, v2
	v_sub_f16_e32 v2, v96, v95
	v_add_f16_e32 v3, v3, v6
	v_fmamk_f16 v5, v1, 0x3aee, v116
	v_fmac_f16_e32 v116, 0xbaee, v1
	v_add_f16_e32 v1, v4, v8
	v_add_f16_e32 v4, v53, v83
	v_fmamk_f16 v6, v2, 0x3aee, v117
	v_fmac_f16_e32 v117, 0xbaee, v2
	v_add_f16_e32 v2, v84, v85
	v_add_f16_e32 v7, v118, v53
	v_fmac_f16_e32 v118, -0.5, v4
	v_sub_f16_e32 v4, v105, v99
	v_add_f16_e32 v8, v119, v84
	v_fmac_f16_e32 v119, -0.5, v2
	v_sub_f16_e32 v2, v82, v100
	v_add_f16_e32 v17, v81, v86
	v_fmamk_f16 v13, v4, 0x3aee, v118
	v_fmac_f16_e32 v118, 0xbaee, v4
	v_add_f16_e32 v4, v8, v85
	v_add_f16_e32 v8, v86, v87
	v_fmamk_f16 v15, v2, 0x3aee, v119
	v_fmac_f16_e32 v119, 0xbaee, v2
	v_add_f16_e32 v2, v88, v89
	;; [unrolled: 14-line block ×3, first 2 shown]
	v_add_f16_e32 v76, v102, v92
	v_fmac_f16_e32 v123, -0.5, v53
	v_sub_f16_e32 v53, v110, v111
	ds_store_b16 v64, v3
	ds_store_b16 v64, v5 offset:100
	ds_store_b16 v64, v116 offset:200
	ds_store_b16 v68, v1
	ds_store_b16 v68, v6 offset:100
	ds_store_b16 v68, v117 offset:200
	;; [unrolled: 3-line block ×4, first 2 shown]
	v_fmac_f16_e32 v102, -0.5, v2
	v_sub_f16_e32 v2, v114, v115
	v_mov_b32_e32 v1, 0
	v_fmamk_f16 v77, v53, 0x3aee, v123
	v_fmac_f16_e32 v123, 0xbaee, v53
	v_add_f16_e32 v53, v76, v93
	v_fmamk_f16 v76, v2, 0x3aee, v102
	v_fmac_f16_e32 v102, 0xbaee, v2
	v_lshlrev_b64 v[2:3], 2, v[0:1]
	v_add_f16_e32 v17, v17, v87
	v_add_nc_u32_e32 v4, -15, v24
	v_add_f16_e32 v75, v75, v91
	ds_store_b16 v70, v17
	ds_store_b16 v70, v60 offset:100
	ds_store_b16 v70, v81 offset:200
	ds_store_b16 v71, v8
	ds_store_b16 v71, v74 offset:100
	ds_store_b16 v71, v108 offset:200
	v_add_co_u32 v2, s0, s4, v2
	s_delay_alu instid0(VALU_DEP_1)
	v_add_co_ci_u32_e64 v3, s0, s5, v3, s0
	v_cmp_gt_u32_e64 s0, 15, v24
	v_mul_u32_u24_e32 v8, 0xda75, v11
	ds_store_b16 v72, v75
	ds_store_b16 v72, v77 offset:100
	ds_store_b16 v72, v123 offset:200
	ds_store_b16 v73, v53
	ds_store_b16 v73, v76 offset:100
	ds_store_b16 v73, v102 offset:200
	v_mov_b32_e32 v5, v1
	v_mul_u32_u24_e32 v11, 0xda75, v9
	v_cndmask_b32_e64 v4, v4, v32, s0
	v_lshrrev_b32_e32 v53, 22, v8
	s_waitcnt lgkmcnt(0)
	s_barrier
	buffer_gl0_inv
	v_lshlrev_b32_e32 v4, 1, v4
	global_load_b64 v[6:7], v[2:3], off offset:560
	v_lshrrev_b32_e32 v64, 22, v10
	v_lshrrev_b32_e32 v69, 22, v14
	v_lshrrev_b32_e32 v72, 22, v16
	v_lshlrev_b64 v[67:68], 2, v[4:5]
	v_mul_lo_u16 v5, 0x96, v53
	s_delay_alu instid0(VALU_DEP_1) | instskip(SKIP_1) | instid1(VALU_DEP_4)
	v_sub_nc_u16 v13, v31, v5
	v_lshrrev_b32_e32 v5, 22, v11
	v_add_co_u32 v8, s0, s4, v67
	s_delay_alu instid0(VALU_DEP_1) | instskip(NEXT) | instid1(VALU_DEP_4)
	v_add_co_ci_u32_e64 v9, s0, s5, v68, s0
	v_and_b32_e32 v60, 0xffff, v13
	s_delay_alu instid0(VALU_DEP_4)
	v_mul_lo_u16 v11, 0x96, v5
	v_lshrrev_b32_e32 v67, 22, v12
	global_load_b64 v[8:9], v[8:9], off offset:560
	v_cmp_lt_u32_e64 s0, 14, v24
	v_lshlrev_b32_e32 v13, 3, v60
	v_sub_nc_u16 v15, v25, v11
	v_mul_u32_u24_e32 v5, 0x384, v5
	global_load_b64 v[10:11], v13, s[4:5] offset:560
	v_mul_lo_u16 v13, 0x96, v64
	v_and_b32_e32 v68, 0xffff, v15
	v_mul_lo_u16 v15, 0x96, v67
	s_delay_alu instid0(VALU_DEP_3) | instskip(NEXT) | instid1(VALU_DEP_3)
	v_sub_nc_u16 v12, v29, v13
	v_lshlrev_b32_e32 v13, 3, v68
	s_delay_alu instid0(VALU_DEP_3) | instskip(NEXT) | instid1(VALU_DEP_3)
	v_sub_nc_u16 v15, v30, v15
	v_and_b32_e32 v70, 0xffff, v12
	global_load_b64 v[12:13], v13, s[4:5] offset:560
	v_and_b32_e32 v71, 0xffff, v15
	v_lshlrev_b32_e32 v17, 3, v70
	s_delay_alu instid0(VALU_DEP_2) | instskip(SKIP_2) | instid1(VALU_DEP_1)
	v_lshlrev_b32_e32 v73, 3, v71
	global_load_b64 v[14:15], v17, s[4:5] offset:560
	v_mul_lo_u16 v17, 0x96, v69
	v_sub_nc_u16 v74, v37, v17
	global_load_b64 v[16:17], v73, s[4:5] offset:560
	v_and_b32_e32 v73, 0xffff, v74
	v_mul_lo_u16 v74, 0x96, v72
	s_delay_alu instid0(VALU_DEP_2) | instskip(NEXT) | instid1(VALU_DEP_2)
	v_lshlrev_b32_e32 v75, 3, v73
	v_sub_nc_u16 v74, v34, v74
	global_load_b64 v[80:81], v75, s[4:5] offset:560
	v_and_b32_e32 v74, 0xffff, v74
	s_delay_alu instid0(VALU_DEP_1) | instskip(SKIP_2) | instid1(VALU_DEP_1)
	v_lshlrev_b32_e32 v76, 3, v74
	global_load_b64 v[82:83], v76, s[4:5] offset:560
	v_mul_lo_u16 v75, 0x96, v43
	v_sub_nc_u16 v75, v35, v75
	s_delay_alu instid0(VALU_DEP_1) | instskip(NEXT) | instid1(VALU_DEP_1)
	v_and_b32_e32 v75, 0xffff, v75
	v_lshlrev_b32_e32 v76, 3, v75
	global_load_b64 v[84:85], v76, s[4:5] offset:560
	v_lshlrev_b32_e32 v76, 3, v42
	global_load_b64 v[86:87], v76, s[4:5] offset:560
	ds_load_u16 v88, v28 offset:2700
	ds_load_u16 v89, v28 offset:5400
	;; [unrolled: 1-line block ×3, first 2 shown]
	ds_load_u16 v76, v28
	ds_load_u16 v77, v28 offset:270
	ds_load_u16 v78, v28 offset:540
	;; [unrolled: 1-line block ×13, first 2 shown]
	s_waitcnt vmcnt(9)
	v_lshrrev_b32_e32 v90, 16, v6
	v_lshrrev_b32_e32 v96, 16, v7
	s_waitcnt lgkmcnt(16)
	s_delay_alu instid0(VALU_DEP_2) | instskip(SKIP_3) | instid1(VALU_DEP_3)
	v_mul_f16_e32 v95, v88, v90
	v_mul_f16_e32 v90, v63, v90
	s_waitcnt lgkmcnt(15)
	v_mul_f16_e32 v104, v89, v96
	v_fmac_f16_e32 v95, v63, v6
	ds_load_u16 v63, v28 offset:3240
	v_fma_f16 v6, v88, v6, -v90
	v_mul_f16_e32 v88, v66, v96
	v_fmac_f16_e32 v104, v66, v7
	ds_load_u16 v90, v28 offset:3510
	ds_load_u16 v96, v28 offset:3780
	;; [unrolled: 1-line block ×6, first 2 shown]
	v_fma_f16 v7, v89, v7, -v88
	s_waitcnt vmcnt(8)
	v_lshrrev_b32_e32 v66, 16, v8
	v_lshrrev_b32_e32 v110, 16, v9
	s_waitcnt lgkmcnt(21)
	s_delay_alu instid0(VALU_DEP_2) | instskip(SKIP_3) | instid1(VALU_DEP_3)
	v_mul_f16_e32 v109, v91, v66
	v_mul_f16_e32 v66, v62, v66
	s_waitcnt vmcnt(7)
	v_lshrrev_b32_e32 v88, 16, v10
	v_fmac_f16_e32 v109, v62, v8
	s_waitcnt lgkmcnt(13)
	v_mul_f16_e32 v62, v97, v110
	v_fma_f16 v8, v91, v8, -v66
	v_mul_f16_e32 v66, v65, v110
	s_waitcnt lgkmcnt(6)
	v_mul_f16_e32 v89, v63, v88
	v_lshrrev_b32_e32 v91, 16, v11
	v_fmac_f16_e32 v62, v65, v9
	v_mul_f16_e32 v65, v61, v88
	v_fma_f16 v9, v97, v9, -v66
	v_fmac_f16_e32 v89, v61, v10
	v_mul_f16_e32 v61, v98, v91
	s_waitcnt vmcnt(6)
	v_lshrrev_b32_e32 v66, 16, v12
	v_fma_f16 v10, v63, v10, -v65
	v_mul_f16_e32 v63, v58, v91
	v_lshrrev_b32_e32 v65, 16, v13
	v_fmac_f16_e32 v61, v58, v11
	s_waitcnt lgkmcnt(5)
	v_mul_f16_e32 v58, v90, v66
	v_mul_f16_e32 v66, v59, v66
	v_fma_f16 v11, v98, v11, -v63
	v_mul_f16_e32 v63, v99, v65
	s_waitcnt vmcnt(5)
	v_lshrrev_b32_e32 v88, 16, v14
	v_fmac_f16_e32 v58, v59, v12
	v_mul_f16_e32 v59, v56, v65
	v_fma_f16 v12, v90, v12, -v66
	v_fmac_f16_e32 v63, v56, v13
	s_waitcnt lgkmcnt(4)
	v_mul_f16_e32 v56, v96, v88
	v_mul_f16_e32 v65, v57, v88
	v_lshrrev_b32_e32 v66, 16, v15
	v_fma_f16 v13, v99, v13, -v59
	s_waitcnt vmcnt(4)
	v_lshrrev_b32_e32 v59, 16, v16
	v_fmac_f16_e32 v56, v57, v14
	v_fma_f16 v14, v96, v14, -v65
	v_mul_f16_e32 v57, v100, v66
	v_mul_f16_e32 v65, v54, v66
	s_waitcnt lgkmcnt(3)
	v_mul_f16_e32 v66, v105, v59
	v_mul_f16_e32 v59, v55, v59
	v_lshrrev_b32_e32 v88, 16, v17
	v_fmac_f16_e32 v57, v54, v15
	v_fma_f16 v15, v100, v15, -v65
	v_fmac_f16_e32 v66, v55, v16
	v_fma_f16 v16, v105, v16, -v59
	v_mul_f16_e32 v54, v101, v88
	s_waitcnt vmcnt(3)
	v_lshrrev_b32_e32 v55, 16, v80
	v_mul_f16_e32 v59, v51, v88
	v_lshrrev_b32_e32 v65, 16, v81
	ds_load_u16 v88, v28 offset:7290
	v_fmac_f16_e32 v54, v51, v17
	s_waitcnt lgkmcnt(3)
	v_mul_f16_e32 v51, v106, v55
	v_fma_f16 v17, v101, v17, -v59
	v_mul_f16_e32 v59, v102, v65
	v_mul_f16_e32 v65, v50, v65
	;; [unrolled: 1-line block ×3, first 2 shown]
	v_fmac_f16_e32 v51, v52, v80
	s_waitcnt vmcnt(2)
	v_lshrrev_b32_e32 v52, 16, v82
	v_fmac_f16_e32 v59, v50, v81
	v_fma_f16 v50, v102, v81, -v65
	ds_load_u16 v65, v28 offset:7560
	v_fma_f16 v55, v106, v80, -v55
	s_waitcnt lgkmcnt(3)
	v_mul_f16_e32 v80, v107, v52
	v_lshrrev_b32_e32 v81, 16, v83
	ds_load_u16 v90, v28 offset:7830
	ds_load_u16 v91, v33 offset:1890
	;; [unrolled: 1-line block ×4, first 2 shown]
	v_mul_f16_e32 v52, v48, v52
	s_waitcnt vmcnt(0) lgkmcnt(0)
	v_fmac_f16_e32 v80, v48, v82
	v_mul_f16_e32 v48, v49, v81
	v_mul_f16_e32 v98, v88, v81
	v_fma_f16 v52, v107, v82, -v52
	s_barrier
	buffer_gl0_inv
	v_fma_f16 v48, v88, v83, -v48
	v_fmac_f16_e32 v98, v49, v83
	v_lshrrev_b32_e32 v99, 16, v84
	v_lshrrev_b32_e32 v81, 16, v85
	s_delay_alu instid0(VALU_DEP_2) | instskip(SKIP_3) | instid1(VALU_DEP_4)
	v_mul_f16_e32 v49, v108, v99
	v_mul_f16_e32 v82, v46, v99
	v_lshrrev_b32_e32 v83, 16, v86
	v_lshrrev_b32_e32 v88, 16, v87
	v_fmac_f16_e32 v49, v46, v84
	v_mul_f16_e32 v46, v65, v81
	v_mul_f16_e32 v81, v44, v81
	v_fma_f16 v82, v108, v84, -v82
	v_mul_f16_e32 v84, v103, v83
	s_delay_alu instid0(VALU_DEP_4) | instskip(NEXT) | instid1(VALU_DEP_4)
	v_fmac_f16_e32 v46, v44, v85
	v_fma_f16 v44, v65, v85, -v81
	v_mul_f16_e32 v65, v45, v83
	s_delay_alu instid0(VALU_DEP_4)
	v_fmac_f16_e32 v84, v45, v86
	v_mul_f16_e32 v45, v90, v88
	v_mul_f16_e32 v81, v47, v88
	v_cndmask_b32_e64 v83, 0, 0x384, s0
	v_add_f16_e32 v85, v41, v95
	v_fma_f16 v65, v103, v86, -v65
	v_fmac_f16_e32 v45, v47, v87
	v_add_f16_e32 v47, v95, v104
	v_add3_u32 v4, 0, v83, v4
	v_add_f16_e32 v83, v6, v7
	v_fma_f16 v81, v90, v87, -v81
	v_add_f16_e32 v88, v23, v89
	v_fmac_f16_e32 v41, -0.5, v47
	v_sub_f16_e32 v47, v6, v7
	v_add_f16_e32 v6, v76, v6
	v_fmac_f16_e32 v76, -0.5, v83
	v_add_f16_e32 v83, v85, v104
	v_sub_f16_e32 v85, v95, v104
	v_fmamk_f16 v86, v47, 0xbaee, v41
	v_add_f16_e32 v6, v6, v7
	v_add_f16_e32 v7, v109, v62
	v_fmac_f16_e32 v41, 0x3aee, v47
	v_fmamk_f16 v87, v85, 0x3aee, v76
	v_fmac_f16_e32 v76, 0xbaee, v85
	v_add_f16_e32 v47, v8, v9
	v_add_f16_e32 v85, v40, v109
	v_fmac_f16_e32 v40, -0.5, v7
	v_sub_f16_e32 v7, v8, v9
	v_add_f16_e32 v8, v77, v8
	v_fmac_f16_e32 v77, -0.5, v47
	v_add_f16_e32 v47, v85, v62
	v_sub_f16_e32 v62, v109, v62
	v_fmamk_f16 v85, v7, 0xbaee, v40
	v_fmac_f16_e32 v40, 0x3aee, v7
	v_add_f16_e32 v7, v8, v9
	v_add_f16_e32 v8, v89, v61
	v_fmamk_f16 v9, v62, 0x3aee, v77
	v_fmac_f16_e32 v77, 0xbaee, v62
	v_add_f16_e32 v62, v10, v11
	ds_store_b16 v28, v83
	ds_store_b16 v28, v86 offset:300
	ds_store_b16 v28, v41 offset:600
	v_fmac_f16_e32 v23, -0.5, v8
	v_sub_f16_e32 v8, v10, v11
	v_add_f16_e32 v10, v78, v10
	v_fmac_f16_e32 v78, -0.5, v62
	v_add_f16_e32 v62, v88, v61
	v_sub_f16_e32 v61, v89, v61
	v_fmamk_f16 v88, v8, 0xbaee, v23
	v_fmac_f16_e32 v23, 0x3aee, v8
	v_add_f16_e32 v8, v10, v11
	v_add_f16_e32 v10, v58, v63
	v_fmamk_f16 v11, v61, 0x3aee, v78
	v_fmac_f16_e32 v78, 0xbaee, v61
	v_add_f16_e32 v61, v12, v13
	v_add_f16_e32 v89, v22, v58
	v_fmac_f16_e32 v22, -0.5, v10
	v_sub_f16_e32 v10, v12, v13
	v_add_f16_e32 v12, v79, v12
	v_fmac_f16_e32 v79, -0.5, v61
	v_add_f16_e32 v61, v89, v63
	v_sub_f16_e32 v58, v58, v63
	v_fmamk_f16 v63, v10, 0xbaee, v22
	v_fmac_f16_e32 v22, 0x3aee, v10
	v_add_f16_e32 v10, v12, v13
	v_add_f16_e32 v12, v56, v57
	v_fmamk_f16 v13, v58, 0x3aee, v79
	v_fmac_f16_e32 v79, 0xbaee, v58
	v_add_f16_e32 v58, v14, v15
	v_add_f16_e32 v89, v21, v56
	;; [unrolled: 14-line block ×5, first 2 shown]
	v_fmac_f16_e32 v39, -0.5, v50
	v_sub_f16_e32 v50, v52, v48
	v_add_f16_e32 v52, v91, v52
	v_fmac_f16_e32 v91, -0.5, v51
	v_add_f16_e32 v51, v55, v98
	v_sub_f16_e32 v55, v80, v98
	v_fmamk_f16 v80, v50, 0xbaee, v39
	v_fmac_f16_e32 v39, 0x3aee, v50
	v_add_f16_e32 v90, v52, v48
	v_add_f16_e32 v50, v82, v44
	;; [unrolled: 1-line block ×4, first 2 shown]
	v_fmamk_f16 v95, v55, 0x3aee, v91
	v_fmac_f16_e32 v91, 0xbaee, v55
	v_add_f16_e32 v55, v96, v82
	v_fmac_f16_e32 v96, -0.5, v50
	v_add_f16_e32 v50, v52, v46
	v_sub_f16_e32 v46, v49, v46
	v_fmac_f16_e32 v38, -0.5, v48
	v_sub_f16_e32 v48, v82, v44
	v_add_f16_e32 v82, v55, v44
	v_add_f16_e32 v44, v84, v45
	v_fmamk_f16 v98, v46, 0x3aee, v96
	v_fmac_f16_e32 v96, 0xbaee, v46
	v_add_f16_e32 v46, v65, v81
	v_fmamk_f16 v49, v48, 0xbaee, v38
	v_fmac_f16_e32 v38, 0x3aee, v48
	v_add_f16_e32 v48, v20, v84
	v_fmac_f16_e32 v20, -0.5, v44
	v_sub_f16_e32 v44, v65, v81
	v_add_f16_e32 v52, v97, v65
	v_fmac_f16_e32 v97, -0.5, v46
	v_sub_f16_e32 v46, v84, v45
	v_add_f16_e32 v45, v48, v45
	v_fmamk_f16 v48, v44, 0xbaee, v20
	v_fmac_f16_e32 v20, 0x3aee, v44
	v_lshlrev_b32_e32 v44, 1, v60
	v_fmamk_f16 v84, v46, 0x3aee, v97
	v_fmac_f16_e32 v97, 0xbaee, v46
	v_mul_u32_u24_e32 v46, 0x384, v53
	v_lshlrev_b32_e32 v41, 1, v68
	ds_store_b16 v4, v47
	ds_store_b16 v4, v85 offset:300
	ds_store_b16 v4, v40 offset:600
	v_lshlrev_b32_e32 v40, 1, v70
	v_mul_u32_u24_e32 v47, 0x384, v64
	v_add3_u32 v83, 0, v46, v44
	v_add3_u32 v5, 0, v5, v41
	v_lshlrev_b32_e32 v41, 1, v71
	ds_store_b16 v83, v62
	ds_store_b16 v83, v88 offset:300
	ds_store_b16 v83, v23 offset:600
	v_add3_u32 v23, 0, v47, v40
	v_mul_u32_u24_e32 v40, 0x384, v67
	v_lshlrev_b32_e32 v44, 1, v73
	ds_store_b16 v5, v61
	ds_store_b16 v5, v63 offset:300
	ds_store_b16 v5, v22 offset:600
	v_mul_u32_u24_e32 v22, 0x384, v69
	v_lshlrev_b32_e32 v46, 1, v74
	v_add3_u32 v69, 0, v40, v41
	ds_store_b16 v23, v58
	ds_store_b16 v23, v57 offset:300
	ds_store_b16 v23, v21 offset:600
	v_add_f16_e32 v81, v52, v81
	v_add3_u32 v21, 0, v22, v44
	v_mul_u32_u24_e32 v22, 0x384, v72
	v_lshlrev_b32_e32 v52, 1, v75
	ds_store_b16 v69, v56
	ds_store_b16 v69, v66 offset:300
	ds_store_b16 v69, v19 offset:600
	v_mul_u32_u24_e32 v19, 0x384, v43
	ds_store_b16 v21, v54
	ds_store_b16 v21, v59 offset:300
	ds_store_b16 v21, v18 offset:600
	v_add3_u32 v22, 0, v22, v46
	v_add3_u32 v18, 0, v19, v52
	v_lshl_add_u32 v19, v42, 1, 0
	ds_store_b16 v22, v51
	ds_store_b16 v22, v80 offset:300
	ds_store_b16 v22, v39 offset:600
	ds_store_b16 v18, v50
	ds_store_b16 v18, v49 offset:300
	ds_store_b16 v18, v38 offset:600
	;; [unrolled: 1-line block ×5, first 2 shown]
	s_waitcnt lgkmcnt(0)
	s_barrier
	buffer_gl0_inv
	ds_load_u16 v43, v28
	ds_load_u16 v45, v28 offset:270
	ds_load_u16 v46, v28 offset:540
	;; [unrolled: 1-line block ×29, first 2 shown]
	s_waitcnt lgkmcnt(0)
	s_barrier
	buffer_gl0_inv
	ds_store_b16 v28, v6
	ds_store_b16 v28, v87 offset:300
	ds_store_b16 v28, v76 offset:600
	ds_store_b16 v4, v7
	ds_store_b16 v4, v9 offset:300
	ds_store_b16 v4, v77 offset:600
	;; [unrolled: 3-line block ×9, first 2 shown]
	ds_store_b16 v19, v81 offset:7200
	ds_store_b16 v19, v84 offset:7500
	;; [unrolled: 1-line block ×3, first 2 shown]
	v_mov_b32_e32 v5, v1
	v_dual_mov_b32 v9, v1 :: v_dual_lshlrev_b32 v4, 1, v32
	v_subrev_nc_u32_e32 v12, 45, v24
	s_waitcnt lgkmcnt(0)
	s_barrier
	buffer_gl0_inv
	v_lshlrev_b64 v[4:5], 2, v[4:5]
	global_load_b64 v[10:11], v[2:3], off offset:1760
	v_lshlrev_b32_e32 v8, 1, v31
	v_dual_mov_b32 v19, v1 :: v_dual_add_nc_u32 v18, 0xb4, v0
	v_and_b32_e32 v20, 0xffff, v34
	v_add_co_u32 v6, s0, s4, v4
	s_delay_alu instid0(VALU_DEP_1)
	v_add_co_ci_u32_e64 v7, s0, s5, v5, s0
	v_cmp_gt_u32_e64 s0, 45, v24
	v_lshlrev_b64 v[4:5], 2, v[8:9]
	v_lshlrev_b64 v[18:19], 2, v[18:19]
	global_load_b64 v[14:15], v[6:7], off offset:1760
	v_add_nc_u32_e32 v0, 0x1c2, v0
	v_cndmask_b32_e64 v12, v12, v25, s0
	v_mul_u32_u24_e32 v20, 0x91a3, v20
	v_add_co_u32 v4, s0, s4, v4
	s_delay_alu instid0(VALU_DEP_1) | instskip(NEXT) | instid1(VALU_DEP_4)
	v_add_co_ci_u32_e64 v5, s0, s5, v5, s0
	v_lshlrev_b32_e32 v8, 1, v12
	s_delay_alu instid0(VALU_DEP_4) | instskip(SKIP_3) | instid1(VALU_DEP_2)
	v_lshrrev_b32_e32 v20, 24, v20
	ds_load_u16 v82, v28 offset:2700
	v_lshlrev_b64 v[16:17], 2, v[8:9]
	v_and_b32_e32 v9, 0xffff, v37
	v_add_co_u32 v16, s0, s4, v16
	s_delay_alu instid0(VALU_DEP_1) | instskip(NEXT) | instid1(VALU_DEP_3)
	v_add_co_ci_u32_e64 v17, s0, s5, v17, s0
	v_mul_u32_u24_e32 v9, 0x91a3, v9
	s_clause 0x1
	global_load_b64 v[22:23], v[16:17], off offset:1760
	global_load_b64 v[12:13], v[4:5], off offset:1760
	v_add_co_u32 v16, s0, s4, v18
	v_lshrrev_b32_e32 v9, 24, v9
	v_add_co_ci_u32_e64 v17, s0, s5, v19, s0
	v_lshlrev_b64 v[18:19], 2, v[0:1]
	s_delay_alu instid0(VALU_DEP_3) | instskip(SKIP_2) | instid1(VALU_DEP_1)
	v_mul_lo_u16 v0, 0x1c2, v9
	global_load_b64 v[76:77], v[16:17], off offset:1760
	v_add_co_u32 v16, s0, s4, v18
	v_add_co_ci_u32_e64 v17, s0, s5, v19, s0
	v_sub_nc_u16 v0, v37, v0
	v_mul_lo_u16 v18, 0x1c2, v20
	v_cmp_lt_u32_e64 s0, 44, v24
	global_load_b64 v[78:79], v[16:17], off offset:1760
	v_and_b32_e32 v31, 0xffff, v0
	v_and_b32_e32 v0, 0xffff, v35
	v_sub_nc_u16 v16, v34, v18
	s_delay_alu instid0(VALU_DEP_3) | instskip(NEXT) | instid1(VALU_DEP_3)
	v_lshlrev_b32_e32 v17, 3, v31
	v_mul_u32_u24_e32 v18, 0x91a3, v0
	s_delay_alu instid0(VALU_DEP_3)
	v_and_b32_e32 v0, 0xffff, v16
	v_and_b32_e32 v16, 0xffff, v36
	global_load_b64 v[80:81], v17, s[4:5] offset:1760
	v_lshrrev_b32_e32 v17, 24, v18
	v_lshlrev_b32_e32 v18, 3, v0
	v_mul_u32_u24_e32 v19, 0x91a3, v16
	v_lshl_add_u32 v0, v0, 1, 0
	s_delay_alu instid0(VALU_DEP_4) | instskip(SKIP_3) | instid1(VALU_DEP_2)
	v_mul_lo_u16 v20, 0x1c2, v17
	global_load_b64 v[16:17], v18, s[4:5] offset:1760
	v_lshrrev_b32_e32 v18, 24, v19
	v_sub_nc_u16 v19, v35, v20
	v_mul_lo_u16 v18, 0x1c2, v18
	s_delay_alu instid0(VALU_DEP_2) | instskip(NEXT) | instid1(VALU_DEP_2)
	v_and_b32_e32 v32, 0xffff, v19
	v_sub_nc_u16 v18, v36, v18
	s_delay_alu instid0(VALU_DEP_2) | instskip(NEXT) | instid1(VALU_DEP_2)
	v_lshlrev_b32_e32 v19, 3, v32
	v_and_b32_e32 v58, 0xffff, v18
	global_load_b64 v[20:21], v19, s[4:5] offset:1760
	v_lshlrev_b32_e32 v18, 3, v58
	v_lshl_add_u32 v58, v58, 1, 0
	global_load_b64 v[18:19], v18, s[4:5] offset:1760
	ds_load_u16 v84, v28 offset:5400
	ds_load_u16 v69, v28 offset:1620
	ds_load_u16 v73, v28
	ds_load_u16 v75, v28 offset:270
	ds_load_u16 v74, v28 offset:540
	;; [unrolled: 1-line block ×6, first 2 shown]
	s_waitcnt vmcnt(9)
	v_lshrrev_b32_e32 v83, 16, v10
	v_lshrrev_b32_e32 v87, 16, v11
	s_waitcnt lgkmcnt(9)
	s_delay_alu instid0(VALU_DEP_2)
	v_mul_f16_e32 v85, v82, v83
	v_mul_f16_e32 v83, v67, v83
	s_waitcnt lgkmcnt(8)
	v_mul_f16_e32 v94, v84, v87
	v_mul_f16_e32 v87, v68, v87
	v_fmac_f16_e32 v85, v67, v10
	ds_load_u16 v67, v28 offset:5670
	ds_load_u16 v88, v28 offset:5940
	;; [unrolled: 1-line block ×8, first 2 shown]
	s_waitcnt vmcnt(8)
	v_lshrrev_b32_e32 v96, 16, v14
	v_fma_f16 v10, v82, v10, -v83
	v_fmac_f16_e32 v94, v68, v11
	v_lshrrev_b32_e32 v68, 16, v15
	ds_load_u16 v82, v28 offset:3510
	ds_load_u16 v83, v28 offset:3780
	ds_load_u16 v97, v28 offset:4050
	ds_load_u16 v98, v28 offset:4320
	ds_load_u16 v99, v28 offset:4590
	ds_load_u16 v100, v28 offset:4860
	s_waitcnt lgkmcnt(14)
	v_mul_f16_e32 v101, v86, v96
	v_fma_f16 v11, v84, v11, -v87
	v_mul_f16_e32 v84, v65, v96
	s_delay_alu instid0(VALU_DEP_3) | instskip(SKIP_4) | instid1(VALU_DEP_2)
	v_fmac_f16_e32 v101, v65, v14
	v_mul_f16_e32 v65, v66, v68
	s_waitcnt lgkmcnt(13)
	v_mul_f16_e32 v87, v67, v68
	v_fma_f16 v14, v86, v14, -v84
	v_fmac_f16_e32 v87, v66, v15
	v_fma_f16 v15, v67, v15, -v65
	s_waitcnt vmcnt(7)
	v_lshrrev_b32_e32 v67, 16, v22
	s_waitcnt vmcnt(6)
	v_lshrrev_b32_e32 v96, 16, v12
	v_lshrrev_b32_e32 v68, 16, v13
	;; [unrolled: 1-line block ×3, first 2 shown]
	s_waitcnt lgkmcnt(6)
	s_delay_alu instid0(VALU_DEP_3) | instskip(SKIP_1) | instid1(VALU_DEP_2)
	v_mul_f16_e32 v66, v95, v96
	v_mul_f16_e32 v65, v64, v96
	v_fmac_f16_e32 v66, v64, v12
	v_mul_f16_e32 v64, v88, v68
	s_delay_alu instid0(VALU_DEP_3)
	v_fma_f16 v12, v95, v12, -v65
	s_waitcnt lgkmcnt(5)
	v_mul_f16_e32 v65, v82, v67
	v_mul_f16_e32 v68, v62, v68
	v_fmac_f16_e32 v64, v62, v13
	v_mul_f16_e32 v62, v63, v67
	s_delay_alu instid0(VALU_DEP_4)
	v_fmac_f16_e32 v65, v63, v22
	v_mul_f16_e32 v63, v89, v84
	s_waitcnt vmcnt(5)
	v_lshrrev_b32_e32 v67, 16, v76
	v_fma_f16 v13, v88, v13, -v68
	v_mul_f16_e32 v68, v60, v84
	v_fma_f16 v22, v82, v22, -v62
	v_lshrrev_b32_e32 v62, 16, v77
	v_fmac_f16_e32 v63, v60, v23
	s_waitcnt lgkmcnt(4)
	v_mul_f16_e32 v60, v83, v67
	v_mul_f16_e32 v67, v61, v67
	s_waitcnt vmcnt(4)
	v_lshrrev_b32_e32 v82, 16, v78
	v_fma_f16 v23, v89, v23, -v68
	v_mul_f16_e32 v68, v90, v62
	v_fmac_f16_e32 v60, v61, v76
	v_mul_f16_e32 v61, v57, v62
	v_fma_f16 v62, v83, v76, -v67
	v_lshrrev_b32_e32 v67, 16, v79
	s_waitcnt lgkmcnt(3)
	v_mul_f16_e32 v76, v97, v82
	v_fmac_f16_e32 v68, v57, v77
	v_fma_f16 v57, v90, v77, -v61
	v_mul_f16_e32 v61, v59, v82
	v_mul_f16_e32 v77, v91, v67
	v_fmac_f16_e32 v76, v59, v78
	v_mul_f16_e32 v59, v55, v67
	s_waitcnt vmcnt(3)
	v_lshrrev_b32_e32 v67, 16, v80
	v_fma_f16 v61, v97, v78, -v61
	ds_load_u16 v78, v28 offset:7290
	v_fmac_f16_e32 v77, v55, v79
	v_lshrrev_b32_e32 v55, 16, v81
	s_waitcnt lgkmcnt(3)
	v_mul_f16_e32 v82, v98, v67
	v_mul_f16_e32 v67, v56, v67
	s_waitcnt vmcnt(2)
	v_lshrrev_b32_e32 v83, 16, v16
	v_fma_f16 v59, v91, v79, -v59
	v_mul_f16_e32 v79, v92, v55
	v_fmac_f16_e32 v82, v56, v80
	v_fma_f16 v56, v98, v80, -v67
	ds_load_u16 v67, v28 offset:7560
	v_mul_f16_e32 v55, v53, v55
	s_waitcnt lgkmcnt(3)
	v_mul_f16_e32 v80, v99, v83
	v_fmac_f16_e32 v79, v53, v81
	s_waitcnt vmcnt(1)
	v_lshrrev_b32_e32 v89, 16, v20
	v_fma_f16 v53, v92, v81, -v55
	v_lshrrev_b32_e32 v55, 16, v17
	v_mul_f16_e32 v81, v54, v83
	v_fmac_f16_e32 v80, v54, v16
	ds_load_u16 v54, v28 offset:7830
	ds_load_u16 v83, v33 offset:1890
	;; [unrolled: 1-line block ×4, first 2 shown]
	s_waitcnt vmcnt(0) lgkmcnt(0)
	v_mul_f16_e32 v88, v78, v55
	v_mul_f16_e32 v55, v52, v55
	v_fma_f16 v16, v99, v16, -v81
	v_lshrrev_b32_e32 v81, 16, v21
	s_barrier
	v_fmac_f16_e32 v88, v52, v17
	v_fma_f16 v17, v78, v17, -v55
	v_mul_f16_e32 v52, v100, v89
	v_mul_f16_e32 v55, v51, v89
	;; [unrolled: 1-line block ×3, first 2 shown]
	v_lshrrev_b32_e32 v89, 16, v18
	v_mul_f16_e32 v81, v48, v81
	v_fmac_f16_e32 v52, v51, v20
	v_fma_f16 v20, v100, v20, -v55
	v_lshrrev_b32_e32 v51, 16, v19
	v_mul_f16_e32 v55, v93, v89
	v_fmac_f16_e32 v78, v48, v21
	v_mul_f16_e32 v48, v50, v89
	v_fma_f16 v21, v67, v21, -v81
	v_mul_f16_e32 v67, v54, v51
	v_fmac_f16_e32 v55, v50, v18
	v_mul_f16_e32 v50, v49, v51
	v_fma_f16 v18, v93, v18, -v48
	v_add_f16_e32 v48, v85, v94
	v_fmac_f16_e32 v67, v49, v19
	v_add_f16_e32 v49, v43, v85
	v_fma_f16 v19, v54, v19, -v50
	v_add_f16_e32 v50, v10, v11
	v_fmac_f16_e32 v43, -0.5, v48
	v_sub_f16_e32 v48, v10, v11
	v_add_f16_e32 v10, v73, v10
	v_add_f16_e32 v49, v49, v94
	v_fmac_f16_e32 v73, -0.5, v50
	v_sub_f16_e32 v50, v85, v94
	v_fmamk_f16 v51, v48, 0xbaee, v43
	v_add_f16_e32 v54, v10, v11
	v_add_f16_e32 v10, v101, v87
	;; [unrolled: 1-line block ×3, first 2 shown]
	v_fmac_f16_e32 v43, 0x3aee, v48
	v_fmamk_f16 v81, v50, 0x3aee, v73
	v_fmac_f16_e32 v73, 0xbaee, v50
	v_fmac_f16_e32 v45, -0.5, v10
	v_sub_f16_e32 v10, v14, v15
	v_add_f16_e32 v48, v14, v15
	v_add_f16_e32 v14, v75, v14
	;; [unrolled: 1-line block ×3, first 2 shown]
	buffer_gl0_inv
	v_fmamk_f16 v50, v10, 0xbaee, v45
	v_fmac_f16_e32 v45, 0x3aee, v10
	v_add_f16_e32 v10, v66, v64
	v_fmac_f16_e32 v75, -0.5, v48
	v_sub_f16_e32 v48, v101, v87
	v_add_f16_e32 v85, v14, v15
	v_add_f16_e32 v14, v46, v66
	v_fmac_f16_e32 v46, -0.5, v10
	v_sub_f16_e32 v10, v12, v13
	v_fmamk_f16 v87, v48, 0x3aee, v75
	v_fmac_f16_e32 v75, 0xbaee, v48
	v_add_f16_e32 v15, v12, v13
	v_add_f16_e32 v12, v74, v12
	v_fmamk_f16 v48, v10, 0xbaee, v46
	v_fmac_f16_e32 v46, 0x3aee, v10
	v_add_f16_e32 v10, v65, v63
	v_add_f16_e32 v14, v14, v64
	v_fmac_f16_e32 v74, -0.5, v15
	v_sub_f16_e32 v15, v66, v64
	v_add_f16_e32 v64, v12, v13
	v_add_f16_e32 v12, v41, v65
	;; [unrolled: 1-line block ×3, first 2 shown]
	v_fmac_f16_e32 v41, -0.5, v10
	v_sub_f16_e32 v10, v22, v23
	v_fmamk_f16 v66, v15, 0x3aee, v74
	v_fmac_f16_e32 v74, 0xbaee, v15
	v_add_f16_e32 v15, v72, v22
	v_fmac_f16_e32 v72, -0.5, v13
	v_sub_f16_e32 v13, v65, v63
	v_fmamk_f16 v22, v10, 0xbaee, v41
	v_fmac_f16_e32 v41, 0x3aee, v10
	v_add_f16_e32 v10, v60, v68
	v_add_f16_e32 v12, v12, v63
	;; [unrolled: 1-line block ×3, first 2 shown]
	v_fmamk_f16 v65, v13, 0x3aee, v72
	v_add_f16_e32 v15, v39, v60
	v_fmac_f16_e32 v72, 0xbaee, v13
	v_add_f16_e32 v13, v62, v57
	v_fmac_f16_e32 v39, -0.5, v10
	v_sub_f16_e32 v10, v62, v57
	v_add_f16_e32 v23, v70, v62
	v_add_f16_e32 v15, v15, v68
	v_fmac_f16_e32 v70, -0.5, v13
	v_sub_f16_e32 v13, v60, v68
	v_fmamk_f16 v60, v10, 0xbaee, v39
	v_fmac_f16_e32 v39, 0x3aee, v10
	v_add_f16_e32 v10, v76, v77
	v_add_f16_e32 v57, v23, v57
	v_fmamk_f16 v62, v13, 0x3aee, v70
	v_add_f16_e32 v23, v61, v59
	v_fmac_f16_e32 v70, 0xbaee, v13
	v_add_f16_e32 v13, v40, v76
	v_fmac_f16_e32 v40, -0.5, v10
	v_sub_f16_e32 v10, v61, v59
	v_add_f16_e32 v61, v71, v61
	v_fmac_f16_e32 v71, -0.5, v23
	v_sub_f16_e32 v23, v76, v77
	v_add_f16_e32 v76, v38, v82
	v_fmamk_f16 v68, v10, 0xbaee, v40
	v_fmac_f16_e32 v40, 0x3aee, v10
	v_add_f16_e32 v10, v82, v79
	v_add_f16_e32 v59, v61, v59
	v_fmamk_f16 v61, v23, 0x3aee, v71
	v_fmac_f16_e32 v71, 0xbaee, v23
	v_add_f16_e32 v23, v56, v53
	v_fmac_f16_e32 v38, -0.5, v10
	v_sub_f16_e32 v10, v56, v53
	v_add_f16_e32 v13, v13, v77
	v_add_f16_e32 v56, v69, v56
	v_fmac_f16_e32 v69, -0.5, v23
	v_add_f16_e32 v23, v76, v79
	v_sub_f16_e32 v76, v82, v79
	v_fmamk_f16 v77, v10, 0xbaee, v38
	v_fmac_f16_e32 v38, 0x3aee, v10
	v_add_f16_e32 v10, v80, v88
	v_add_f16_e32 v53, v56, v53
	v_fmamk_f16 v56, v76, 0x3aee, v69
	v_fmac_f16_e32 v69, 0xbaee, v76
	v_add_f16_e32 v76, v16, v17
	v_add_f16_e32 v79, v47, v80
	v_fmac_f16_e32 v47, -0.5, v10
	v_sub_f16_e32 v10, v16, v17
	v_add_f16_e32 v16, v83, v16
	v_fmac_f16_e32 v83, -0.5, v76
	v_add_f16_e32 v76, v79, v88
	v_sub_f16_e32 v79, v80, v88
	v_fmamk_f16 v80, v10, 0xbaee, v47
	v_fmac_f16_e32 v47, 0x3aee, v10
	v_add_f16_e32 v82, v16, v17
	v_add_f16_e32 v10, v52, v78
	;; [unrolled: 1-line block ×4, first 2 shown]
	v_fmamk_f16 v88, v79, 0x3aee, v83
	v_fmac_f16_e32 v83, 0xbaee, v79
	v_fmac_f16_e32 v44, -0.5, v10
	v_sub_f16_e32 v10, v20, v21
	v_add_f16_e32 v20, v84, v20
	v_fmac_f16_e32 v84, -0.5, v16
	v_add_f16_e32 v16, v17, v78
	v_sub_f16_e32 v17, v52, v78
	v_fmamk_f16 v52, v10, 0xbaee, v44
	v_fmac_f16_e32 v44, 0x3aee, v10
	v_add_f16_e32 v10, v55, v67
	v_add_f16_e32 v78, v20, v21
	v_fmamk_f16 v79, v17, 0x3aee, v84
	v_fmac_f16_e32 v84, 0xbaee, v17
	v_add_f16_e32 v17, v18, v19
	v_add_f16_e32 v20, v42, v55
	v_fmac_f16_e32 v42, -0.5, v10
	v_sub_f16_e32 v10, v18, v19
	v_add_f16_e32 v18, v86, v18
	v_fmac_f16_e32 v86, -0.5, v17
	v_sub_f16_e32 v17, v55, v67
	v_add_f16_e32 v20, v20, v67
	v_fmamk_f16 v21, v10, 0xbaee, v42
	v_fmac_f16_e32 v42, 0x3aee, v10
	v_lshlrev_b32_e32 v10, 1, v31
	v_fmamk_f16 v67, v17, 0x3aee, v86
	v_fmac_f16_e32 v86, 0xbaee, v17
	v_cndmask_b32_e64 v17, 0, 0xa8c, s0
	ds_store_b16 v28, v49
	ds_store_b16 v28, v11 offset:270
	ds_store_b16 v28, v50 offset:1170
	;; [unrolled: 1-line block ×8, first 2 shown]
	v_add_f16_e32 v55, v18, v19
	v_add3_u32 v50, 0, v17, v8
	v_mul_u32_u24_e32 v8, 0xa8c, v9
	ds_store_b16 v50, v12
	ds_store_b16 v50, v22 offset:900
	ds_store_b16 v50, v41 offset:1800
	ds_store_b16 v33, v15 offset:2880
	ds_store_b16 v33, v13 offset:3150
	v_add3_u32 v51, 0, v8, v10
	ds_store_b16 v33, v60 offset:3780
	ds_store_b16 v33, v68 offset:4050
	;; [unrolled: 1-line block ×4, first 2 shown]
	v_lshl_add_u32 v60, v32, 1, 0
	ds_store_b16 v51, v23
	ds_store_b16 v51, v77 offset:900
	ds_store_b16 v51, v38 offset:1800
	;; [unrolled: 1-line block ×11, first 2 shown]
	s_waitcnt lgkmcnt(0)
	s_barrier
	buffer_gl0_inv
	ds_load_u16 v42, v28
	ds_load_u16 v43, v28 offset:270
	ds_load_u16 v8, v28 offset:540
	;; [unrolled: 1-line block ×29, first 2 shown]
	s_waitcnt lgkmcnt(0)
	s_barrier
	buffer_gl0_inv
	ds_store_b16 v28, v54
	ds_store_b16 v28, v85 offset:270
	ds_store_b16 v28, v87 offset:1170
	ds_store_b16 v28, v81 offset:900
	ds_store_b16 v28, v64 offset:540
	ds_store_b16 v28, v75 offset:2070
	ds_store_b16 v28, v73 offset:1800
	ds_store_b16 v28, v66 offset:1440
	ds_store_b16 v28, v74 offset:2340
	ds_store_b16 v50, v63
	ds_store_b16 v50, v65 offset:900
	ds_store_b16 v50, v72 offset:1800
	ds_store_b16 v33, v57 offset:2880
	ds_store_b16 v33, v59 offset:3150
	ds_store_b16 v33, v62 offset:3780
	ds_store_b16 v33, v61 offset:4050
	ds_store_b16 v33, v70 offset:4680
	ds_store_b16 v33, v71 offset:4950
	ds_store_b16 v51, v53
	ds_store_b16 v51, v56 offset:900
	ds_store_b16 v51, v69 offset:1800
	ds_store_b16 v0, v82 offset:5400
	ds_store_b16 v0, v88 offset:6300
	ds_store_b16 v0, v83 offset:7200
	ds_store_b16 v60, v78 offset:5400
	ds_store_b16 v60, v79 offset:6300
	ds_store_b16 v60, v84 offset:7200
	ds_store_b16 v58, v55 offset:5400
	ds_store_b16 v58, v67 offset:6300
	ds_store_b16 v58, v86 offset:7200
	s_waitcnt lgkmcnt(0)
	s_barrier
	buffer_gl0_inv
	s_and_saveexec_b32 s0, vcc_lo
	s_cbranch_execz .LBB0_13
; %bb.12:
	v_lshlrev_b32_e32 v0, 1, v36
	v_add_co_u32 v6, vcc_lo, 0x1000, v6
	v_add_co_ci_u32_e32 v7, vcc_lo, 0, v7, vcc_lo
	s_delay_alu instid0(VALU_DEP_3) | instskip(SKIP_3) | instid1(VALU_DEP_4)
	v_lshlrev_b64 v[50:51], 2, v[0:1]
	v_add_co_u32 v2, vcc_lo, 0x1000, v2
	v_lshlrev_b32_e32 v0, 1, v35
	v_add_co_ci_u32_e32 v3, vcc_lo, 0, v3, vcc_lo
	v_add_co_u32 v50, vcc_lo, s4, v50
	v_add_co_ci_u32_e32 v51, vcc_lo, s5, v51, vcc_lo
	s_delay_alu instid0(VALU_DEP_4) | instskip(NEXT) | instid1(VALU_DEP_3)
	v_lshlrev_b64 v[52:53], 2, v[0:1]
	v_add_co_u32 v50, vcc_lo, 0x1000, v50
	s_delay_alu instid0(VALU_DEP_3)
	v_add_co_ci_u32_e32 v51, vcc_lo, 0, v51, vcc_lo
	global_load_b64 v[6:7], v[6:7], off offset:1264
	v_add_co_u32 v0, vcc_lo, s4, v52
	v_add_co_ci_u32_e32 v53, vcc_lo, s5, v53, vcc_lo
	global_load_b64 v[50:51], v[50:51], off offset:1264
	v_add_co_u32 v52, vcc_lo, 0x1000, v0
	v_lshlrev_b32_e32 v0, 1, v34
	v_add_co_ci_u32_e32 v53, vcc_lo, 0, v53, vcc_lo
	s_delay_alu instid0(VALU_DEP_2) | instskip(SKIP_3) | instid1(VALU_DEP_2)
	v_lshlrev_b64 v[54:55], 2, v[0:1]
	global_load_b64 v[52:53], v[52:53], off offset:1264
	v_add_co_u32 v0, vcc_lo, s4, v54
	v_add_co_ci_u32_e32 v55, vcc_lo, s5, v55, vcc_lo
	v_add_co_u32 v54, vcc_lo, 0x1000, v0
	v_lshlrev_b32_e32 v0, 1, v37
	s_delay_alu instid0(VALU_DEP_3) | instskip(NEXT) | instid1(VALU_DEP_2)
	v_add_co_ci_u32_e32 v55, vcc_lo, 0, v55, vcc_lo
	v_lshlrev_b64 v[56:57], 2, v[0:1]
	global_load_b64 v[54:55], v[54:55], off offset:1264
	v_add_co_u32 v0, vcc_lo, s4, v56
	v_add_co_ci_u32_e32 v57, vcc_lo, s5, v57, vcc_lo
	s_delay_alu instid0(VALU_DEP_2) | instskip(SKIP_1) | instid1(VALU_DEP_3)
	v_add_co_u32 v56, vcc_lo, 0x1000, v0
	v_lshlrev_b32_e32 v0, 1, v30
	v_add_co_ci_u32_e32 v57, vcc_lo, 0, v57, vcc_lo
	s_delay_alu instid0(VALU_DEP_2) | instskip(SKIP_3) | instid1(VALU_DEP_2)
	v_lshlrev_b64 v[58:59], 2, v[0:1]
	global_load_b64 v[56:57], v[56:57], off offset:1264
	v_add_co_u32 v0, vcc_lo, s4, v58
	v_add_co_ci_u32_e32 v30, vcc_lo, s5, v59, vcc_lo
	v_add_co_u32 v58, vcc_lo, 0x1000, v0
	v_lshlrev_b32_e32 v0, 1, v29
	s_delay_alu instid0(VALU_DEP_3) | instskip(NEXT) | instid1(VALU_DEP_2)
	v_add_co_ci_u32_e32 v59, vcc_lo, 0, v30, vcc_lo
	v_lshlrev_b64 v[29:30], 2, v[0:1]
	global_load_b64 v[58:59], v[58:59], off offset:1264
	v_add_co_u32 v0, vcc_lo, s4, v29
	v_add_co_ci_u32_e32 v30, vcc_lo, s5, v30, vcc_lo
	s_delay_alu instid0(VALU_DEP_2) | instskip(NEXT) | instid1(VALU_DEP_2)
	v_add_co_u32 v29, vcc_lo, 0x1000, v0
	v_add_co_ci_u32_e32 v30, vcc_lo, 0, v30, vcc_lo
	v_lshlrev_b32_e32 v0, 1, v25
	s_clause 0x1
	global_load_b64 v[29:30], v[29:30], off offset:1264
	global_load_b64 v[2:3], v[2:3], off offset:1264
	v_lshlrev_b64 v[60:61], 2, v[0:1]
	s_delay_alu instid0(VALU_DEP_1) | instskip(NEXT) | instid1(VALU_DEP_2)
	v_add_co_u32 v0, vcc_lo, s4, v60
	v_add_co_ci_u32_e32 v25, vcc_lo, s5, v61, vcc_lo
	s_delay_alu instid0(VALU_DEP_2) | instskip(NEXT) | instid1(VALU_DEP_2)
	v_add_co_u32 v60, vcc_lo, 0x1000, v0
	v_add_co_ci_u32_e32 v61, vcc_lo, 0, v25, vcc_lo
	v_add_co_u32 v4, vcc_lo, 0x1000, v4
	v_add_co_ci_u32_e32 v5, vcc_lo, 0, v5, vcc_lo
	s_clause 0x1
	global_load_b64 v[60:61], v[60:61], off offset:1264
	global_load_b64 v[4:5], v[4:5], off offset:1264
	ds_load_u16 v0, v28 offset:5130
	ds_load_u16 v66, v33 offset:2430
	;; [unrolled: 1-line block ×22, first 2 shown]
	ds_load_u16 v86, v28
	v_add_co_u32 v87, vcc_lo, s8, v26
	v_mul_hi_u32 v26, 0xc22e4507, v37
	ds_load_u16 v37, v28 offset:7020
	ds_load_u16 v89, v28 offset:6750
	;; [unrolled: 1-line block ×7, first 2 shown]
	v_mov_b32_e32 v25, v1
	v_add_co_ci_u32_e32 v88, vcc_lo, s9, v27, vcc_lo
	s_delay_alu instid0(VALU_DEP_2) | instskip(SKIP_1) | instid1(VALU_DEP_2)
	v_lshlrev_b64 v[24:25], 2, v[24:25]
	v_lshrrev_b32_e32 v94, 10, v26
	v_add_co_u32 v24, vcc_lo, v87, v24
	s_delay_alu instid0(VALU_DEP_3) | instskip(NEXT) | instid1(VALU_DEP_2)
	v_add_co_ci_u32_e32 v25, vcc_lo, v88, v25, vcc_lo
	v_add_co_u32 v26, vcc_lo, 0x1000, v24
	s_delay_alu instid0(VALU_DEP_2)
	v_add_co_ci_u32_e32 v27, vcc_lo, 0, v25, vcc_lo
	v_add_co_u32 v62, vcc_lo, 0x2000, v24
	v_add_co_ci_u32_e32 v63, vcc_lo, 0, v25, vcc_lo
	v_add_co_u32 v64, vcc_lo, 0x3000, v24
	v_add_co_ci_u32_e32 v65, vcc_lo, 0, v25, vcc_lo
	s_waitcnt vmcnt(9)
	v_lshrrev_b32_e32 v95, 16, v6
	v_lshrrev_b32_e32 v96, 16, v7
	s_delay_alu instid0(VALU_DEP_2) | instskip(NEXT) | instid1(VALU_DEP_2)
	v_mul_f16_e32 v99, v47, v95
	v_mul_f16_e32 v100, v49, v96
	s_waitcnt lgkmcnt(15)
	v_mul_f16_e32 v95, v78, v95
	s_waitcnt lgkmcnt(1)
	v_mul_f16_e32 v96, v93, v96
	v_fma_f16 v78, v6, v78, -v99
	v_fma_f16 v93, v7, v93, -v100
	v_fmac_f16_e32 v95, v47, v6
	s_delay_alu instid0(VALU_DEP_4)
	v_fmac_f16_e32 v96, v49, v7
	s_waitcnt vmcnt(8)
	v_lshrrev_b32_e32 v99, 16, v50
	v_lshrrev_b32_e32 v100, 16, v51
	v_sub_f16_e32 v47, v78, v93
	s_waitcnt vmcnt(2)
	v_lshrrev_b32_e32 v97, 16, v2
	v_lshrrev_b32_e32 v98, 16, v3
	s_delay_alu instid0(VALU_DEP_2) | instskip(NEXT) | instid1(VALU_DEP_2)
	v_mul_f16_e32 v101, v46, v97
	v_mul_f16_e32 v102, v48, v98
	;; [unrolled: 1-line block ×3, first 2 shown]
	s_waitcnt lgkmcnt(0)
	v_mul_f16_e32 v98, v28, v98
	v_fma_f16 v6, v2, v79, -v101
	v_fma_f16 v7, v3, v28, -v102
	v_fmac_f16_e32 v97, v46, v2
	s_delay_alu instid0(VALU_DEP_4)
	v_fmac_f16_e32 v98, v48, v3
	v_add_f16_e32 v2, v78, v93
	v_sub_f16_e32 v3, v95, v96
	v_add_f16_e32 v28, v85, v78
	v_add_f16_e32 v46, v95, v96
	;; [unrolled: 1-line block ×4, first 2 shown]
	v_sub_f16_e32 v78, v97, v98
	v_add_f16_e32 v79, v86, v6
	v_add_f16_e32 v95, v97, v98
	;; [unrolled: 1-line block ×3, first 2 shown]
	v_sub_f16_e32 v6, v6, v7
	v_fma_f16 v2, -0.5, v2, v85
	v_add_f16_e32 v28, v28, v93
	v_fma_f16 v43, -0.5, v46, v43
	v_add_f16_e32 v46, v48, v96
	;; [unrolled: 2-line block ×4, first 2 shown]
	v_mul_f16_e32 v79, v44, v99
	v_mul_f16_e32 v85, v45, v100
	;; [unrolled: 1-line block ×4, first 2 shown]
	v_lshrrev_b32_e32 v95, 16, v52
	v_lshrrev_b32_e32 v96, 16, v53
	v_fmamk_f16 v97, v3, 0xbaee, v2
	v_fmac_f16_e32 v2, 0x3aee, v3
	v_fmamk_f16 v3, v47, 0x3aee, v43
	v_fmac_f16_e32 v43, 0xbaee, v47
	v_fmamk_f16 v47, v78, 0xbaee, v48
	v_fmac_f16_e32 v48, 0x3aee, v78
	v_fmamk_f16 v78, v6, 0x3aee, v42
	v_fmac_f16_e32 v42, 0xbaee, v6
	v_pack_b32_f16 v6, v49, v7
	v_pack_b32_f16 v7, v46, v28
	v_fma_f16 v0, v50, v0, -v79
	v_fma_f16 v28, v51, v68, -v85
	v_fmac_f16_e32 v86, v44, v50
	v_fmac_f16_e32 v93, v45, v51
	v_mul_f16_e32 v44, v40, v95
	v_mul_f16_e32 v45, v41, v96
	v_mul_f16_e32 v46, v71, v95
	v_mul_f16_e32 v49, v69, v96
	v_lshrrev_b32_e32 v50, 16, v54
	v_lshrrev_b32_e32 v51, 16, v55
	v_pack_b32_f16 v47, v78, v47
	v_pack_b32_f16 v2, v43, v2
	v_add_f16_e32 v43, v0, v28
	v_add_f16_e32 v68, v66, v0
	v_add_f16_e32 v78, v86, v93
	v_fma_f16 v44, v52, v71, -v44
	v_fma_f16 v45, v53, v69, -v45
	v_fmac_f16_e32 v46, v40, v52
	v_fmac_f16_e32 v49, v41, v53
	v_mul_f16_e32 v40, v32, v50
	v_mul_f16_e32 v41, v38, v51
	;; [unrolled: 1-line block ×4, first 2 shown]
	v_lshrrev_b32_e32 v52, 16, v56
	v_lshrrev_b32_e32 v53, 16, v57
	v_pack_b32_f16 v42, v42, v48
	v_sub_f16_e32 v48, v86, v93
	v_sub_f16_e32 v0, v0, v28
	v_add_f16_e32 v79, v39, v86
	v_fma_f16 v43, -0.5, v43, v66
	v_add_f16_e32 v28, v68, v28
	v_fma_f16 v39, -0.5, v78, v39
	v_add_f16_e32 v68, v44, v45
	v_sub_f16_e32 v69, v46, v49
	v_add_f16_e32 v71, v67, v44
	v_add_f16_e32 v78, v46, v49
	v_add_f16_e32 v46, v31, v46
	v_fma_f16 v40, v54, v72, -v40
	v_fma_f16 v41, v55, v70, -v41
	v_fmac_f16_e32 v50, v32, v54
	v_fmac_f16_e32 v51, v38, v55
	v_mul_f16_e32 v32, v22, v52
	v_mul_f16_e32 v38, v21, v53
	;; [unrolled: 1-line block ×4, first 2 shown]
	v_lshrrev_b32_e32 v54, 16, v58
	v_lshrrev_b32_e32 v55, 16, v59
	v_sub_f16_e32 v44, v44, v45
	v_fmamk_f16 v70, v48, 0xbaee, v43
	v_fmac_f16_e32 v43, 0x3aee, v48
	v_fmamk_f16 v48, v0, 0x3aee, v39
	v_fmac_f16_e32 v39, 0xbaee, v0
	v_fma_f16 v67, -0.5, v68, v67
	v_add_f16_e32 v45, v71, v45
	v_fma_f16 v31, -0.5, v78, v31
	v_add_f16_e32 v46, v46, v49
	v_add_f16_e32 v0, v40, v41
	v_sub_f16_e32 v49, v50, v51
	v_add_f16_e32 v68, v33, v40
	v_add_f16_e32 v71, v50, v51
	;; [unrolled: 1-line block ×3, first 2 shown]
	v_fma_f16 v32, v56, v73, -v32
	v_fma_f16 v37, v57, v37, -v38
	v_fmac_f16_e32 v52, v22, v56
	v_fmac_f16_e32 v53, v21, v57
	v_mul_f16_e32 v21, v20, v54
	v_mul_f16_e32 v22, v19, v55
	;; [unrolled: 1-line block ×4, first 2 shown]
	v_lshrrev_b32_e32 v55, 16, v29
	v_lshrrev_b32_e32 v56, 16, v30
	v_sub_f16_e32 v40, v40, v41
	v_fmamk_f16 v57, v69, 0xbaee, v67
	v_fmac_f16_e32 v67, 0x3aee, v69
	v_fmamk_f16 v69, v44, 0x3aee, v31
	v_fmac_f16_e32 v31, 0xbaee, v44
	v_fma_f16 v33, -0.5, v0, v33
	v_add_f16_e32 v41, v68, v41
	v_fma_f16 v23, -0.5, v71, v23
	v_add_f16_e32 v44, v50, v51
	v_add_f16_e32 v0, v32, v37
	v_sub_f16_e32 v50, v52, v53
	v_add_f16_e32 v51, v80, v32
	v_add_f16_e32 v68, v52, v53
	;; [unrolled: 1-line block ×3, first 2 shown]
	v_fma_f16 v21, v58, v74, -v21
	v_fma_f16 v22, v59, v89, -v22
	v_fmac_f16_e32 v38, v20, v58
	v_fmac_f16_e32 v54, v19, v59
	v_mul_f16_e32 v19, v18, v55
	v_mul_f16_e32 v20, v16, v56
	;; [unrolled: 1-line block ×4, first 2 shown]
	s_waitcnt vmcnt(1)
	v_lshrrev_b32_e32 v58, 16, v60
	v_lshrrev_b32_e32 v59, 16, v61
	s_waitcnt vmcnt(0)
	v_lshrrev_b32_e32 v71, 16, v4
	v_lshrrev_b32_e32 v72, 16, v5
	v_sub_f16_e32 v32, v32, v37
	v_fmamk_f16 v73, v49, 0xbaee, v33
	v_fmac_f16_e32 v33, 0x3aee, v49
	v_fmamk_f16 v49, v40, 0x3aee, v23
	v_fmac_f16_e32 v23, 0xbaee, v40
	v_fma_f16 v40, -0.5, v0, v80
	v_add_f16_e32 v37, v51, v37
	v_fma_f16 v17, -0.5, v68, v17
	v_add_f16_e32 v51, v52, v53
	v_sub_f16_e32 v52, v38, v54
	v_add_f16_e32 v53, v81, v21
	v_add_f16_e32 v68, v38, v54
	;; [unrolled: 1-line block ×3, first 2 shown]
	v_fma_f16 v19, v29, v75, -v19
	v_fma_f16 v20, v30, v90, -v20
	v_fmac_f16_e32 v55, v18, v29
	v_fmac_f16_e32 v56, v16, v30
	v_mul_f16_e32 v16, v15, v58
	v_mul_f16_e32 v18, v12, v59
	;; [unrolled: 1-line block ×8, first 2 shown]
	v_add_f16_e32 v0, v21, v22
	v_sub_f16_e32 v21, v21, v22
	v_fmamk_f16 v74, v50, 0xbaee, v40
	v_fmac_f16_e32 v40, 0x3aee, v50
	v_fmamk_f16 v50, v32, 0x3aee, v17
	v_fmac_f16_e32 v17, 0xbaee, v32
	v_add_f16_e32 v22, v53, v22
	v_fma_f16 v14, -0.5, v68, v14
	v_add_f16_e32 v32, v38, v54
	v_add_f16_e32 v38, v19, v20
	v_sub_f16_e32 v53, v55, v56
	v_add_f16_e32 v54, v82, v19
	v_add_f16_e32 v68, v55, v56
	;; [unrolled: 1-line block ×3, first 2 shown]
	v_fma_f16 v16, v60, v76, -v16
	v_fma_f16 v18, v61, v91, -v18
	v_fmac_f16_e32 v29, v15, v60
	v_fmac_f16_e32 v30, v12, v61
	v_fma_f16 v12, v4, v77, -v58
	v_fma_f16 v15, v5, v92, -v59
	v_fmac_f16_e32 v71, v13, v4
	v_fmac_f16_e32 v72, v11, v5
	v_fma_f16 v0, -0.5, v0, v81
	v_sub_f16_e32 v19, v19, v20
	v_fmamk_f16 v5, v21, 0x3aee, v14
	v_fmac_f16_e32 v14, 0xbaee, v21
	v_fma_f16 v11, -0.5, v38, v82
	v_add_f16_e32 v13, v54, v20
	v_fma_f16 v10, -0.5, v68, v10
	v_add_f16_e32 v20, v55, v56
	v_add_f16_e32 v21, v16, v18
	v_sub_f16_e32 v38, v29, v30
	v_add_f16_e32 v54, v29, v30
	v_add_f16_e32 v29, v9, v29
	;; [unrolled: 1-line block ×4, first 2 shown]
	v_fmamk_f16 v4, v52, 0xbaee, v0
	v_fmac_f16_e32 v0, 0x3aee, v52
	v_add_f16_e32 v52, v83, v16
	v_sub_f16_e32 v16, v16, v18
	v_sub_f16_e32 v56, v71, v72
	v_add_f16_e32 v58, v84, v12
	v_sub_f16_e32 v12, v12, v15
	v_add_f16_e32 v60, v8, v71
	v_pack_b32_f16 v22, v32, v22
	v_fmamk_f16 v32, v53, 0xbaee, v11
	v_fmac_f16_e32 v11, 0x3aee, v53
	v_fmamk_f16 v53, v19, 0x3aee, v10
	v_fmac_f16_e32 v10, 0xbaee, v19
	v_fma_f16 v19, -0.5, v21, v83
	v_fma_f16 v9, -0.5, v54, v9
	v_add_f16_e32 v21, v29, v30
	v_fma_f16 v29, -0.5, v55, v84
	v_fma_f16 v8, -0.5, v59, v8
	v_add_f16_e32 v18, v52, v18
	v_pack_b32_f16 v13, v20, v13
	v_fmamk_f16 v20, v38, 0xbaee, v19
	v_fmac_f16_e32 v19, 0x3aee, v38
	v_fmamk_f16 v38, v16, 0x3aee, v9
	v_fmac_f16_e32 v9, 0xbaee, v16
	v_fmamk_f16 v16, v56, 0xbaee, v29
	v_fmamk_f16 v52, v12, 0x3aee, v8
	v_pack_b32_f16 v3, v3, v97
	v_add_f16_e32 v15, v58, v15
	v_add_f16_e32 v30, v60, v72
	v_fmac_f16_e32 v29, 0x3aee, v56
	v_fmac_f16_e32 v8, 0xbaee, v12
	global_store_b32 v[26:27], v2, off offset:1844
	v_pack_b32_f16 v2, v52, v16
	v_pack_b32_f16 v16, v38, v20
	;; [unrolled: 1-line block ×5, first 2 shown]
	s_clause 0x7
	global_store_b32 v[62:63], v3, off offset:3148
	global_store_b32 v[62:63], v2, off offset:3688
	;; [unrolled: 1-line block ×3, first 2 shown]
	global_store_b32 v[24:25], v6, off
	global_store_b32 v[24:25], v7, off offset:540
	global_store_b32 v[24:25], v12, off offset:1080
	;; [unrolled: 1-line block ×4, first 2 shown]
	v_pack_b32_f16 v6, v14, v0
	v_mul_u32_u24_e32 v0, 0xa8c, v94
	v_pack_b32_f16 v9, v9, v19
	v_pack_b32_f16 v2, v10, v11
	s_clause 0x2
	global_store_b32 v[26:27], v8, off offset:2384
	global_store_b32 v[26:27], v9, off offset:2924
	;; [unrolled: 1-line block ×3, first 2 shown]
	v_lshlrev_b64 v[2:3], 2, v[0:1]
	v_mul_hi_u32 v0, 0xc22e4507, v34
	v_pack_b32_f16 v11, v5, v4
	v_pack_b32_f16 v10, v53, v32
	;; [unrolled: 1-line block ×4, first 2 shown]
	v_add_co_u32 v2, vcc_lo, v24, v2
	v_add_co_ci_u32_e32 v3, vcc_lo, v25, v3, vcc_lo
	v_lshrrev_b32_e32 v0, 10, v0
	s_delay_alu instid0(VALU_DEP_3) | instskip(NEXT) | instid1(VALU_DEP_3)
	v_add_co_u32 v4, vcc_lo, 0x2000, v2
	v_add_co_ci_u32_e32 v5, vcc_lo, 0, v3, vcc_lo
	s_delay_alu instid0(VALU_DEP_3)
	v_mul_u32_u24_e32 v0, 0xa8c, v0
	s_clause 0x3
	global_store_b32 v[26:27], v42, off offset:1304
	global_store_b32 v[24:25], v22, off offset:2700
	;; [unrolled: 1-line block ×4, first 2 shown]
	v_add_co_u32 v6, vcc_lo, 0x3000, v2
	v_lshlrev_b64 v[8:9], 2, v[0:1]
	v_mul_hi_u32 v0, 0xc22e4507, v35
	v_add_co_ci_u32_e32 v7, vcc_lo, 0, v3, vcc_lo
	s_clause 0x3
	global_store_b32 v[64:65], v10, off offset:672
	global_store_b32 v[64:65], v11, off offset:1212
	;; [unrolled: 1-line block ×4, first 2 shown]
	v_add_co_u32 v2, vcc_lo, v24, v8
	v_mul_hi_u32 v13, 0xc22e4507, v36
	v_lshrrev_b32_e32 v0, 10, v0
	v_pack_b32_f16 v14, v50, v74
	v_add_co_ci_u32_e32 v3, vcc_lo, v25, v9, vcc_lo
	v_add_co_u32 v4, vcc_lo, 0x2000, v2
	s_delay_alu instid0(VALU_DEP_4) | instskip(NEXT) | instid1(VALU_DEP_3)
	v_mad_u32_u24 v0, 0xa8c, v0, v35
	v_add_co_ci_u32_e32 v5, vcc_lo, 0, v3, vcc_lo
	global_store_b32 v[6:7], v14, off offset:1752
	v_pack_b32_f16 v10, v44, v41
	v_lshlrev_b64 v[6:7], 2, v[0:1]
	v_add_co_u32 v8, vcc_lo, 0x3000, v2
	v_lshrrev_b32_e32 v0, 10, v13
	v_pack_b32_f16 v11, v23, v33
	v_pack_b32_f16 v12, v49, v73
	v_add_co_ci_u32_e32 v9, vcc_lo, 0, v3, vcc_lo
	s_clause 0x2
	global_store_b32 v[2:3], v10, off offset:3780
	global_store_b32 v[4:5], v11, off offset:988
	;; [unrolled: 1-line block ×3, first 2 shown]
	v_add_co_u32 v2, vcc_lo, v87, v6
	v_mad_u32_u24 v0, 0xa8c, v0, v36
	v_add_co_ci_u32_e32 v3, vcc_lo, v88, v7, vcc_lo
	s_delay_alu instid0(VALU_DEP_3) | instskip(NEXT) | instid1(VALU_DEP_3)
	v_add_co_u32 v4, vcc_lo, 0x1000, v2
	v_lshlrev_b64 v[0:1], 2, v[0:1]
	s_delay_alu instid0(VALU_DEP_3) | instskip(SKIP_2) | instid1(VALU_DEP_4)
	v_add_co_ci_u32_e32 v5, vcc_lo, 0, v3, vcc_lo
	v_add_co_u32 v6, vcc_lo, 0x2000, v2
	v_add_co_ci_u32_e32 v7, vcc_lo, 0, v3, vcc_lo
	v_add_co_u32 v0, vcc_lo, v87, v0
	v_add_co_ci_u32_e32 v1, vcc_lo, v88, v1, vcc_lo
	v_add_f16_e32 v66, v79, v93
	v_pack_b32_f16 v12, v46, v45
	s_delay_alu instid0(VALU_DEP_4)
	v_add_co_u32 v8, vcc_lo, 0x1000, v0
	v_pack_b32_f16 v13, v31, v67
	v_pack_b32_f16 v14, v69, v57
	v_add_co_ci_u32_e32 v9, vcc_lo, 0, v1, vcc_lo
	v_pack_b32_f16 v15, v66, v28
	v_add_co_u32 v10, vcc_lo, 0x2000, v0
	v_pack_b32_f16 v16, v39, v43
	v_pack_b32_f16 v17, v48, v70
	v_add_co_ci_u32_e32 v11, vcc_lo, 0, v1, vcc_lo
	s_clause 0x5
	global_store_b32 v[2:3], v12, off
	global_store_b32 v[4:5], v13, off offset:1304
	global_store_b32 v[6:7], v14, off offset:2608
	global_store_b32 v[0:1], v15, off
	global_store_b32 v[8:9], v16, off offset:1304
	global_store_b32 v[10:11], v17, off offset:2608
.LBB0_13:
	s_nop 0
	s_sendmsg sendmsg(MSG_DEALLOC_VGPRS)
	s_endpgm
	.section	.rodata,"a",@progbits
	.p2align	6, 0x0
	.amdhsa_kernel fft_rtc_back_len4050_factors_10_5_3_3_3_3_wgs_135_tpt_135_halfLds_half_ip_CI_unitstride_sbrr_dirReg
		.amdhsa_group_segment_fixed_size 0
		.amdhsa_private_segment_fixed_size 0
		.amdhsa_kernarg_size 88
		.amdhsa_user_sgpr_count 15
		.amdhsa_user_sgpr_dispatch_ptr 0
		.amdhsa_user_sgpr_queue_ptr 0
		.amdhsa_user_sgpr_kernarg_segment_ptr 1
		.amdhsa_user_sgpr_dispatch_id 0
		.amdhsa_user_sgpr_private_segment_size 0
		.amdhsa_wavefront_size32 1
		.amdhsa_uses_dynamic_stack 0
		.amdhsa_enable_private_segment 0
		.amdhsa_system_sgpr_workgroup_id_x 1
		.amdhsa_system_sgpr_workgroup_id_y 0
		.amdhsa_system_sgpr_workgroup_id_z 0
		.amdhsa_system_sgpr_workgroup_info 0
		.amdhsa_system_vgpr_workitem_id 0
		.amdhsa_next_free_vgpr 124
		.amdhsa_next_free_sgpr 21
		.amdhsa_reserve_vcc 1
		.amdhsa_float_round_mode_32 0
		.amdhsa_float_round_mode_16_64 0
		.amdhsa_float_denorm_mode_32 3
		.amdhsa_float_denorm_mode_16_64 3
		.amdhsa_dx10_clamp 1
		.amdhsa_ieee_mode 1
		.amdhsa_fp16_overflow 0
		.amdhsa_workgroup_processor_mode 1
		.amdhsa_memory_ordered 1
		.amdhsa_forward_progress 0
		.amdhsa_shared_vgpr_count 0
		.amdhsa_exception_fp_ieee_invalid_op 0
		.amdhsa_exception_fp_denorm_src 0
		.amdhsa_exception_fp_ieee_div_zero 0
		.amdhsa_exception_fp_ieee_overflow 0
		.amdhsa_exception_fp_ieee_underflow 0
		.amdhsa_exception_fp_ieee_inexact 0
		.amdhsa_exception_int_div_zero 0
	.end_amdhsa_kernel
	.text
.Lfunc_end0:
	.size	fft_rtc_back_len4050_factors_10_5_3_3_3_3_wgs_135_tpt_135_halfLds_half_ip_CI_unitstride_sbrr_dirReg, .Lfunc_end0-fft_rtc_back_len4050_factors_10_5_3_3_3_3_wgs_135_tpt_135_halfLds_half_ip_CI_unitstride_sbrr_dirReg
                                        ; -- End function
	.section	.AMDGPU.csdata,"",@progbits
; Kernel info:
; codeLenInByte = 21584
; NumSgprs: 23
; NumVgprs: 124
; ScratchSize: 0
; MemoryBound: 0
; FloatMode: 240
; IeeeMode: 1
; LDSByteSize: 0 bytes/workgroup (compile time only)
; SGPRBlocks: 2
; VGPRBlocks: 15
; NumSGPRsForWavesPerEU: 23
; NumVGPRsForWavesPerEU: 124
; Occupancy: 10
; WaveLimiterHint : 1
; COMPUTE_PGM_RSRC2:SCRATCH_EN: 0
; COMPUTE_PGM_RSRC2:USER_SGPR: 15
; COMPUTE_PGM_RSRC2:TRAP_HANDLER: 0
; COMPUTE_PGM_RSRC2:TGID_X_EN: 1
; COMPUTE_PGM_RSRC2:TGID_Y_EN: 0
; COMPUTE_PGM_RSRC2:TGID_Z_EN: 0
; COMPUTE_PGM_RSRC2:TIDIG_COMP_CNT: 0
	.text
	.p2alignl 7, 3214868480
	.fill 96, 4, 3214868480
	.type	__hip_cuid_4a3183f7b8138555,@object ; @__hip_cuid_4a3183f7b8138555
	.section	.bss,"aw",@nobits
	.globl	__hip_cuid_4a3183f7b8138555
__hip_cuid_4a3183f7b8138555:
	.byte	0                               ; 0x0
	.size	__hip_cuid_4a3183f7b8138555, 1

	.ident	"AMD clang version 19.0.0git (https://github.com/RadeonOpenCompute/llvm-project roc-6.4.0 25133 c7fe45cf4b819c5991fe208aaa96edf142730f1d)"
	.section	".note.GNU-stack","",@progbits
	.addrsig
	.addrsig_sym __hip_cuid_4a3183f7b8138555
	.amdgpu_metadata
---
amdhsa.kernels:
  - .args:
      - .actual_access:  read_only
        .address_space:  global
        .offset:         0
        .size:           8
        .value_kind:     global_buffer
      - .offset:         8
        .size:           8
        .value_kind:     by_value
      - .actual_access:  read_only
        .address_space:  global
        .offset:         16
        .size:           8
        .value_kind:     global_buffer
      - .actual_access:  read_only
        .address_space:  global
        .offset:         24
        .size:           8
        .value_kind:     global_buffer
      - .offset:         32
        .size:           8
        .value_kind:     by_value
      - .actual_access:  read_only
        .address_space:  global
        .offset:         40
        .size:           8
        .value_kind:     global_buffer
      - .actual_access:  read_only
        .address_space:  global
        .offset:         48
        .size:           8
        .value_kind:     global_buffer
      - .offset:         56
        .size:           4
        .value_kind:     by_value
      - .actual_access:  read_only
        .address_space:  global
        .offset:         64
        .size:           8
        .value_kind:     global_buffer
      - .actual_access:  read_only
        .address_space:  global
        .offset:         72
        .size:           8
        .value_kind:     global_buffer
      - .address_space:  global
        .offset:         80
        .size:           8
        .value_kind:     global_buffer
    .group_segment_fixed_size: 0
    .kernarg_segment_align: 8
    .kernarg_segment_size: 88
    .language:       OpenCL C
    .language_version:
      - 2
      - 0
    .max_flat_workgroup_size: 135
    .name:           fft_rtc_back_len4050_factors_10_5_3_3_3_3_wgs_135_tpt_135_halfLds_half_ip_CI_unitstride_sbrr_dirReg
    .private_segment_fixed_size: 0
    .sgpr_count:     23
    .sgpr_spill_count: 0
    .symbol:         fft_rtc_back_len4050_factors_10_5_3_3_3_3_wgs_135_tpt_135_halfLds_half_ip_CI_unitstride_sbrr_dirReg.kd
    .uniform_work_group_size: 1
    .uses_dynamic_stack: false
    .vgpr_count:     124
    .vgpr_spill_count: 0
    .wavefront_size: 32
    .workgroup_processor_mode: 1
amdhsa.target:   amdgcn-amd-amdhsa--gfx1100
amdhsa.version:
  - 1
  - 2
...

	.end_amdgpu_metadata
